;; amdgpu-corpus repo=ROCm/rocFFT kind=compiled arch=gfx950 opt=O3
	.text
	.amdgcn_target "amdgcn-amd-amdhsa--gfx950"
	.amdhsa_code_object_version 6
	.protected	bluestein_single_fwd_len3125_dim1_dp_op_CI_CI ; -- Begin function bluestein_single_fwd_len3125_dim1_dp_op_CI_CI
	.globl	bluestein_single_fwd_len3125_dim1_dp_op_CI_CI
	.p2align	8
	.type	bluestein_single_fwd_len3125_dim1_dp_op_CI_CI,@function
bluestein_single_fwd_len3125_dim1_dp_op_CI_CI: ; @bluestein_single_fwd_len3125_dim1_dp_op_CI_CI
; %bb.0:
	s_load_dwordx4 s[12:15], s[0:1], 0x28
	v_mul_u32_u24_e32 v1, 0x20d, v0
	v_add_u32_sdwa v228, s2, v1 dst_sel:DWORD dst_unused:UNUSED_PAD src0_sel:DWORD src1_sel:WORD_1
	v_mov_b32_e32 v229, 0
	s_waitcnt lgkmcnt(0)
	v_cmp_gt_u64_e32 vcc, s[12:13], v[228:229]
	s_and_saveexec_b64 s[2:3], vcc
	s_cbranch_execz .LBB0_2
; %bb.1:
	s_load_dwordx4 s[4:7], s[0:1], 0x0
	s_load_dwordx4 s[8:11], s[0:1], 0x18
	s_load_dwordx2 s[2:3], s[0:1], 0x38
	s_mov_b32 s0, 0
	v_mov_b32_e32 v177, s0
	v_mov_b32_e32 v2, s14
	s_movk_i32 s14, 0x7d
	s_waitcnt lgkmcnt(0)
	v_mov_b32_e32 v4, s2
	v_mov_b32_e32 v5, s3
	s_load_dwordx4 s[0:3], s[10:11], 0x0
	scratch_store_dwordx2 off, v[4:5], off offset:28 ; 8-byte Folded Spill
	v_mul_lo_u16_sdwa v1, v1, s14 dst_sel:DWORD dst_unused:UNUSED_PAD src0_sel:WORD_1 src1_sel:DWORD
	v_sub_u16_e32 v176, v0, v1
	v_mov_b32_e32 v3, s15
	s_waitcnt lgkmcnt(0)
	v_mad_u64_u32 v[4:5], s[10:11], s2, v228, 0
	s_load_dwordx4 s[8:11], s[8:9], 0x0
	v_mov_b32_e32 v0, v5
	v_mad_u64_u32 v[0:1], s[2:3], s3, v228, v[0:1]
	v_mov_b32_e32 v5, v0
	s_waitcnt lgkmcnt(0)
	v_mad_u64_u32 v[0:1], s[2:3], s10, v228, 0
	scratch_store_dwordx2 off, v[4:5], off offset:36 ; 8-byte Folded Spill
	v_mov_b32_e32 v4, v1
	v_mad_u64_u32 v[4:5], s[2:3], s11, v228, v[4:5]
	v_mov_b32_e32 v1, v4
	v_mad_u64_u32 v[4:5], s[2:3], s8, v176, 0
	;; [unrolled: 2-line block ×3, first 2 shown]
	v_mov_b32_e32 v5, v6
	v_lshl_add_u64 v[0:1], v[0:1], 4, v[2:3]
	v_lshl_add_u64 v[8:9], v[4:5], 4, v[0:1]
	v_lshlrev_b32_e32 v228, 4, v176
	global_load_dwordx4 v[0:3], v[8:9], off
	global_load_dwordx4 v[10:13], v228, s[4:5]
	v_mov_b32_e32 v142, 0x2710
	v_lshl_add_u64 v[136:137], s[4:5], 0, v[228:229]
	s_movk_i32 s16, 0x2000
	v_mov_b32_e32 v22, 0xffff6b90
                                        ; kill: killed $sgpr4_sgpr5
	s_mov_b32 s13, 0xbfee6f0e
	s_movk_i32 s15, 0xcd
	s_waitcnt vmcnt(0)
	scratch_store_dwordx4 off, v[10:13], off offset:60 ; 16-byte Folded Spill
	v_mul_f64 v[4:5], v[2:3], v[12:13]
	v_fmac_f64_e32 v[4:5], v[0:1], v[10:11]
	v_mul_f64 v[0:1], v[0:1], v[12:13]
	v_fma_f64 v[6:7], v[2:3], v[10:11], -v[0:1]
	v_mad_u64_u32 v[10:11], s[2:3], s8, v142, v[8:9]
	s_mul_i32 s2, s9, 0x2710
	v_add_co_u32_e32 v0, vcc, s16, v136
	v_add_u32_e32 v11, s2, v11
	s_nop 0
	v_addc_co_u32_e32 v1, vcc, 0, v137, vcc
	ds_write_b128 v228, v[4:7]
	global_load_dwordx4 v[2:5], v[10:11], off
	global_load_dwordx4 v[12:15], v[0:1], off offset:1808
	s_movk_i32 s3, 0x4000
                                        ; kill: killed $vgpr0 killed $vgpr1
	s_waitcnt vmcnt(0)
	scratch_store_dwordx4 off, v[12:15], off offset:92 ; 16-byte Folded Spill
	v_mul_f64 v[6:7], v[4:5], v[14:15]
	v_fmac_f64_e32 v[6:7], v[2:3], v[12:13]
	v_mul_f64 v[2:3], v[2:3], v[14:15]
	v_fma_f64 v[8:9], v[4:5], v[12:13], -v[2:3]
	ds_write_b128 v228, v[6:9] offset:10000
	v_mad_u64_u32 v[12:13], s[10:11], s8, v142, v[10:11]
	v_add_co_u32_e32 v6, vcc, s3, v136
	v_add_u32_e32 v13, s2, v13
	s_nop 0
	v_addc_co_u32_e32 v7, vcc, 0, v137, vcc
	global_load_dwordx4 v[2:5], v[12:13], off
	global_load_dwordx4 v[14:17], v[6:7], off offset:3616
	s_movk_i32 s3, 0x7000
	v_mad_u64_u32 v[12:13], s[10:11], s8, v142, v[12:13]
	v_add_u32_e32 v13, s2, v13
	s_waitcnt vmcnt(0)
	v_mul_f64 v[8:9], v[4:5], v[16:17]
	scratch_store_dwordx4 off, v[14:17], off offset:200 ; 16-byte Folded Spill
	v_fmac_f64_e32 v[8:9], v[2:3], v[14:15]
	v_mul_f64 v[2:3], v[2:3], v[16:17]
	v_add_co_u32_e32 v16, vcc, s3, v136
	v_fma_f64 v[10:11], v[4:5], v[14:15], -v[2:3]
	s_nop 0
	v_addc_co_u32_e32 v17, vcc, 0, v137, vcc
	global_load_dwordx4 v[2:5], v[12:13], off
	global_load_dwordx4 v[18:21], v[16:17], off offset:1328
	ds_write_b128 v228, v[8:11] offset:20000
	s_mov_b32 s3, 0x9000
                                        ; kill: killed $vgpr16 killed $vgpr17
	s_waitcnt vmcnt(0)
	v_mul_f64 v[8:9], v[4:5], v[20:21]
	v_fmac_f64_e32 v[8:9], v[2:3], v[18:19]
	v_mul_f64 v[2:3], v[2:3], v[20:21]
	v_fma_f64 v[10:11], v[4:5], v[18:19], -v[2:3]
	v_mad_u64_u32 v[2:3], s[10:11], s8, v142, v[12:13]
	v_add_co_u32_e32 v4, vcc, s3, v136
	v_accvgpr_write_b32 a91, v21
	v_add_u32_e32 v3, s2, v3
	v_addc_co_u32_e32 v5, vcc, 0, v137, vcc
	v_accvgpr_write_b32 a90, v20
	v_accvgpr_write_b32 a89, v19
	v_accvgpr_write_b32 a88, v18
	ds_write_b128 v228, v[8:11] offset:30000
	global_load_dwordx4 v[8:11], v[2:3], off
	global_load_dwordx4 v[18:21], v[4:5], off offset:3136
	s_mov_b64 s[10:11], 0x7d
	s_mul_i32 s3, s9, 0xffff6b90
	v_lshl_add_u64 v[184:185], v[176:177], 0, s[10:11]
	s_sub_i32 s3, s3, s8
	s_movk_i32 s9, 0x5000
                                        ; kill: killed $vgpr4 killed $vgpr5
	s_waitcnt vmcnt(0)
	v_mul_f64 v[12:13], v[10:11], v[20:21]
	v_fmac_f64_e32 v[12:13], v[8:9], v[18:19]
	v_mul_f64 v[8:9], v[8:9], v[20:21]
	v_fma_f64 v[14:15], v[10:11], v[18:19], -v[8:9]
	v_mov_b32_e32 v8, 0xffff6b90
	v_mad_u64_u32 v[2:3], s[10:11], s8, v8, v[2:3]
	v_accvgpr_write_b32 a103, v21
	ds_write_b128 v228, v[12:15] offset:40000
	v_add_u32_e32 v3, s3, v3
	v_accvgpr_write_b32 a102, v20
	v_accvgpr_write_b32 a101, v19
	;; [unrolled: 1-line block ×3, first 2 shown]
	global_load_dwordx4 v[8:11], v[2:3], off
	global_load_dwordx4 v[18:21], v228, s[4:5] offset:2000
	s_waitcnt vmcnt(0)
	v_mul_f64 v[12:13], v[10:11], v[20:21]
	v_fmac_f64_e32 v[12:13], v[8:9], v[18:19]
	v_mul_f64 v[8:9], v[8:9], v[20:21]
	v_fma_f64 v[14:15], v[10:11], v[18:19], -v[8:9]
	ds_write_b128 v228, v[12:15] offset:2000
	v_mad_u64_u32 v[12:13], s[10:11], s8, v142, v[2:3]
	scratch_store_dwordx4 off, v[18:21], off offset:44 ; 16-byte Folded Spill
	v_add_u32_e32 v13, s2, v13
	global_load_dwordx4 v[8:11], v[12:13], off
	global_load_dwordx4 v[18:21], v[0:1], off offset:3808
	v_mad_u64_u32 v[12:13], s[10:11], s8, v142, v[12:13]
	v_add_co_u32_e32 v14, vcc, s9, v136
	v_add_u32_e32 v13, s2, v13
	s_nop 0
	v_addc_co_u32_e32 v15, vcc, 0, v137, vcc
	s_mov_b32 s9, 0xa000
                                        ; kill: killed $vgpr14 killed $vgpr15
	s_waitcnt vmcnt(0)
	v_mul_f64 v[0:1], v[10:11], v[20:21]
	v_mul_f64 v[2:3], v[8:9], v[20:21]
	v_fmac_f64_e32 v[0:1], v[8:9], v[18:19]
	v_fma_f64 v[2:3], v[10:11], v[18:19], -v[2:3]
	scratch_store_dwordx4 off, v[18:21], off offset:76 ; 16-byte Folded Spill
	ds_write_b128 v228, v[0:3] offset:12000
	global_load_dwordx4 v[0:3], v[12:13], off
	global_load_dwordx4 v[18:21], v[14:15], off offset:1520
	v_mad_u64_u32 v[12:13], s[10:11], s8, v142, v[12:13]
	v_add_u32_e32 v13, s2, v13
	s_waitcnt vmcnt(0)
	scratch_store_dwordx4 off, v[18:21], off offset:124 ; 16-byte Folded Spill
	v_mul_f64 v[8:9], v[2:3], v[20:21]
	v_fmac_f64_e32 v[8:9], v[0:1], v[18:19]
	v_mul_f64 v[0:1], v[0:1], v[20:21]
	v_fma_f64 v[10:11], v[2:3], v[18:19], -v[0:1]
	ds_write_b128 v228, v[8:11] offset:22000
	global_load_dwordx4 v[0:3], v[12:13], off
	global_load_dwordx4 v[18:21], v[16:17], off offset:3328
	v_mad_u64_u32 v[12:13], s[10:11], s8, v142, v[12:13]
	v_add_co_u32_e32 v16, vcc, s9, v136
	v_add_u32_e32 v13, s2, v13
	s_nop 0
	v_addc_co_u32_e32 v17, vcc, 0, v137, vcc
	s_mov_b64 s[10:11], 0xfa
	v_lshl_add_u64 v[182:183], v[176:177], 0, s[10:11]
	s_waitcnt vmcnt(0)
	v_mul_f64 v[8:9], v[2:3], v[20:21]
	v_fmac_f64_e32 v[8:9], v[0:1], v[18:19]
	v_mul_f64 v[0:1], v[0:1], v[20:21]
	scratch_store_dwordx4 off, v[18:21], off offset:152 ; 16-byte Folded Spill
	v_fma_f64 v[10:11], v[2:3], v[18:19], -v[0:1]
	global_load_dwordx4 v[0:3], v[12:13], off
	global_load_dwordx4 v[18:21], v[16:17], off offset:1040
	ds_write_b128 v228, v[8:11] offset:32000
	v_mad_u64_u32 v[12:13], s[10:11], s8, v22, v[12:13]
	v_add_u32_e32 v13, s3, v13
	s_mov_b32 s11, 0xbfe2cf23
	s_waitcnt vmcnt(0)
	v_mul_f64 v[8:9], v[2:3], v[20:21]
	v_fmac_f64_e32 v[8:9], v[0:1], v[18:19]
	v_mul_f64 v[0:1], v[0:1], v[20:21]
	v_fma_f64 v[10:11], v[2:3], v[18:19], -v[0:1]
	scratch_store_dwordx4 off, v[18:21], off offset:168 ; 16-byte Folded Spill
	ds_write_b128 v228, v[8:11] offset:42000
	global_load_dwordx4 v[0:3], v[12:13], off
	global_load_dwordx4 v[18:21], v228, s[4:5] offset:4000
	v_mad_u64_u32 v[12:13], s[4:5], s8, v142, v[12:13]
	s_movk_i32 s4, 0x3000
	v_add_u32_e32 v13, s2, v13
	s_waitcnt vmcnt(0)
	v_mul_f64 v[8:9], v[2:3], v[20:21]
	v_fmac_f64_e32 v[8:9], v[0:1], v[18:19]
	v_mul_f64 v[0:1], v[0:1], v[20:21]
	scratch_store_dwordx4 off, v[18:21], off offset:184 ; 16-byte Folded Spill
	v_fma_f64 v[10:11], v[2:3], v[18:19], -v[0:1]
	global_load_dwordx4 v[0:3], v[12:13], off
	v_add_co_u32_e32 v18, vcc, s4, v136
	ds_write_b128 v228, v[8:11] offset:4000
	s_nop 0
	v_addc_co_u32_e32 v19, vcc, 0, v137, vcc
	global_load_dwordx4 v[24:27], v[18:19], off offset:1712
	v_mad_u64_u32 v[12:13], s[4:5], s8, v142, v[12:13]
	v_add_u32_e32 v13, s2, v13
	s_waitcnt vmcnt(0)
	v_mul_f64 v[8:9], v[2:3], v[26:27]
	v_fmac_f64_e32 v[8:9], v[0:1], v[24:25]
	v_mul_f64 v[0:1], v[0:1], v[26:27]
	v_fma_f64 v[10:11], v[2:3], v[24:25], -v[0:1]
	scratch_store_dwordx4 off, v[24:27], off offset:216 ; 16-byte Folded Spill
	ds_write_b128 v228, v[8:11] offset:14000
	global_load_dwordx4 v[0:3], v[12:13], off
	global_load_dwordx4 v[24:27], v[14:15], off offset:3520
	v_mad_u64_u32 v[12:13], s[4:5], s8, v142, v[12:13]
	s_mov_b32 s4, 0x8000
	s_nop 0
	v_add_co_u32_e32 v20, vcc, s4, v136
	v_add_u32_e32 v13, s2, v13
	s_nop 0
	v_addc_co_u32_e32 v21, vcc, 0, v137, vcc
	s_waitcnt vmcnt(0)
	v_mul_f64 v[8:9], v[2:3], v[26:27]
	v_fmac_f64_e32 v[8:9], v[0:1], v[24:25]
	v_mul_f64 v[0:1], v[0:1], v[26:27]
	scratch_store_dwordx4 off, v[24:27], off offset:232 ; 16-byte Folded Spill
	v_fma_f64 v[10:11], v[2:3], v[24:25], -v[0:1]
	global_load_dwordx4 v[0:3], v[12:13], off
	global_load_dwordx4 v[24:27], v[20:21], off offset:1232
	ds_write_b128 v228, v[8:11] offset:24000
	v_mad_u64_u32 v[12:13], s[4:5], s8, v142, v[12:13]
	v_add_u32_e32 v13, s2, v13
	s_mov_b64 s[4:5], 0x177
	v_lshl_add_u64 v[180:181], v[176:177], 0, s[4:5]
	s_waitcnt vmcnt(0)
	v_mul_f64 v[8:9], v[2:3], v[26:27]
	v_fmac_f64_e32 v[8:9], v[0:1], v[24:25]
	v_mul_f64 v[0:1], v[0:1], v[26:27]
	v_fma_f64 v[10:11], v[2:3], v[24:25], -v[0:1]
	v_accvgpr_write_b32 a67, v27
	ds_write_b128 v228, v[8:11] offset:34000
	v_accvgpr_write_b32 a66, v26
	v_accvgpr_write_b32 a65, v25
	;; [unrolled: 1-line block ×3, first 2 shown]
	global_load_dwordx4 v[0:3], v[12:13], off
	global_load_dwordx4 v[24:27], v[16:17], off offset:3040
	v_mad_u64_u32 v[12:13], s[4:5], s8, v22, v[12:13]
	s_movk_i32 s4, 0x1000
	s_nop 0
	v_add_co_u32_e32 v16, vcc, s4, v136
	v_add_u32_e32 v13, s3, v13
	s_nop 0
	v_addc_co_u32_e32 v17, vcc, 0, v137, vcc
                                        ; kill: killed $vgpr16 killed $vgpr17
	s_waitcnt vmcnt(0)
	v_mul_f64 v[8:9], v[2:3], v[26:27]
	v_fmac_f64_e32 v[8:9], v[0:1], v[24:25]
	v_mul_f64 v[0:1], v[0:1], v[26:27]
	v_accvgpr_write_b32 a191, v27
	v_fma_f64 v[10:11], v[2:3], v[24:25], -v[0:1]
	v_accvgpr_write_b32 a190, v26
	v_accvgpr_write_b32 a189, v25
	;; [unrolled: 1-line block ×3, first 2 shown]
	global_load_dwordx4 v[0:3], v[12:13], off
	global_load_dwordx4 v[24:27], v[16:17], off offset:1904
	ds_write_b128 v228, v[8:11] offset:44000
	v_mad_u64_u32 v[12:13], s[4:5], s8, v142, v[12:13]
	v_add_u32_e32 v13, s2, v13
	s_waitcnt vmcnt(0)
	v_mul_f64 v[8:9], v[2:3], v[26:27]
	v_fmac_f64_e32 v[8:9], v[0:1], v[24:25]
	v_mul_f64 v[0:1], v[0:1], v[26:27]
	v_fma_f64 v[10:11], v[2:3], v[24:25], -v[0:1]
	v_accvgpr_write_b32 a75, v27
	ds_write_b128 v228, v[8:11] offset:6000
	v_accvgpr_write_b32 a74, v26
	v_accvgpr_write_b32 a73, v25
	;; [unrolled: 1-line block ×3, first 2 shown]
	global_load_dwordx4 v[0:3], v[12:13], off
	global_load_dwordx4 v[24:27], v[18:19], off offset:3712
	s_waitcnt vmcnt(0)
	v_mul_f64 v[8:9], v[2:3], v[26:27]
	v_fmac_f64_e32 v[8:9], v[0:1], v[24:25]
	v_mul_f64 v[0:1], v[0:1], v[26:27]
	v_fma_f64 v[10:11], v[2:3], v[24:25], -v[0:1]
	ds_write_b128 v228, v[8:11] offset:16000
	v_mad_u64_u32 v[8:9], s[4:5], s8, v142, v[12:13]
	s_movk_i32 s4, 0x6000
	s_nop 0
	v_add_co_u32_e32 v10, vcc, s4, v136
	v_accvgpr_write_b32 a71, v27
	v_add_u32_e32 v9, s2, v9
	v_addc_co_u32_e32 v11, vcc, 0, v137, vcc
	v_accvgpr_write_b32 a70, v26
	v_accvgpr_write_b32 a69, v25
	;; [unrolled: 1-line block ×3, first 2 shown]
	global_load_dwordx4 v[0:3], v[8:9], off
	global_load_dwordx4 v[24:27], v[10:11], off offset:1424
	v_mad_u64_u32 v[8:9], s[4:5], s8, v142, v[8:9]
	v_add_u32_e32 v9, s2, v9
	v_mad_u64_u32 v[18:19], s[4:5], s8, v142, v[8:9]
	s_mov_b32 s4, 0xb000
	v_add_u32_e32 v19, s2, v19
                                        ; kill: killed $vgpr10 killed $vgpr11
	s_waitcnt vmcnt(0)
	v_mul_f64 v[12:13], v[2:3], v[26:27]
	v_fmac_f64_e32 v[12:13], v[0:1], v[24:25]
	v_mul_f64 v[0:1], v[0:1], v[26:27]
	v_fma_f64 v[14:15], v[2:3], v[24:25], -v[0:1]
	v_accvgpr_write_b32 a83, v27
	ds_write_b128 v228, v[12:15] offset:26000
	v_accvgpr_write_b32 a82, v26
	v_accvgpr_write_b32 a81, v25
	;; [unrolled: 1-line block ×3, first 2 shown]
	global_load_dwordx4 v[0:3], v[8:9], off
	global_load_dwordx4 v[24:27], v[20:21], off offset:3232
	v_add_co_u32_e32 v8, vcc, s4, v136
	s_mov_b64 s[4:5], 0x1f4
	s_nop 0
	v_addc_co_u32_e32 v9, vcc, 0, v137, vcc
	v_lshl_add_u64 v[172:173], v[176:177], 0, s[4:5]
	s_waitcnt vmcnt(0)
	v_mul_f64 v[12:13], v[2:3], v[26:27]
	v_fmac_f64_e32 v[12:13], v[0:1], v[24:25]
	v_mul_f64 v[0:1], v[0:1], v[26:27]
	v_accvgpr_write_b32 a79, v27
	v_fma_f64 v[14:15], v[2:3], v[24:25], -v[0:1]
	v_accvgpr_write_b32 a78, v26
	v_accvgpr_write_b32 a77, v25
	;; [unrolled: 1-line block ×3, first 2 shown]
	global_load_dwordx4 v[0:3], v[18:19], off
	global_load_dwordx4 v[24:27], v[8:9], off offset:944
	ds_write_b128 v228, v[12:15] offset:36000
	v_mad_u64_u32 v[18:19], s[4:5], s8, v22, v[18:19]
	v_add_u32_e32 v19, s3, v19
	s_waitcnt vmcnt(0)
	v_mul_f64 v[12:13], v[2:3], v[26:27]
	v_fmac_f64_e32 v[12:13], v[0:1], v[24:25]
	v_mul_f64 v[0:1], v[0:1], v[26:27]
	v_fma_f64 v[14:15], v[2:3], v[24:25], -v[0:1]
	ds_write_b128 v228, v[12:15] offset:46000
	global_load_dwordx4 v[0:3], v[18:19], off
	global_load_dwordx4 v[20:23], v[16:17], off offset:3904
	v_accvgpr_write_b32 a87, v27
	v_accvgpr_write_b32 a86, v26
	;; [unrolled: 1-line block ×4, first 2 shown]
	s_waitcnt vmcnt(0)
	v_mul_f64 v[12:13], v[2:3], v[22:23]
	v_fmac_f64_e32 v[12:13], v[0:1], v[20:21]
	v_mul_f64 v[0:1], v[0:1], v[22:23]
	v_fma_f64 v[14:15], v[2:3], v[20:21], -v[0:1]
	ds_write_b128 v228, v[12:15] offset:8000
	v_mad_u64_u32 v[12:13], s[4:5], s8, v142, v[18:19]
	scratch_store_dwordx4 off, v[20:23], off offset:12 ; 16-byte Folded Spill
	v_add_u32_e32 v13, s2, v13
	global_load_dwordx4 v[0:3], v[12:13], off
	global_load_dwordx4 v[18:21], v[6:7], off offset:1616
	v_mad_u64_u32 v[6:7], s[4:5], s8, v142, v[12:13]
	v_add_u32_e32 v7, s2, v7
	s_waitcnt vmcnt(0)
	v_mul_f64 v[14:15], v[2:3], v[20:21]
	v_fmac_f64_e32 v[14:15], v[0:1], v[18:19]
	v_mul_f64 v[0:1], v[0:1], v[20:21]
	v_fma_f64 v[16:17], v[2:3], v[18:19], -v[0:1]
	ds_write_b128 v228, v[14:17] offset:18000
	global_load_dwordx4 v[0:3], v[6:7], off
	global_load_dwordx4 v[12:15], v[10:11], off offset:3424
	v_accvgpr_write_b32 a99, v21
	v_accvgpr_write_b32 a98, v20
	v_accvgpr_write_b32 a97, v19
	v_accvgpr_write_b32 a96, v18
	s_waitcnt vmcnt(0)
	v_mul_f64 v[10:11], v[2:3], v[14:15]
	v_fmac_f64_e32 v[10:11], v[0:1], v[12:13]
	v_mul_f64 v[0:1], v[0:1], v[14:15]
	scratch_store_dwordx4 off, v[12:15], off offset:108 ; 16-byte Folded Spill
	s_nop 1
	v_fma_f64 v[12:13], v[2:3], v[12:13], -v[0:1]
	v_mad_u64_u32 v[0:1], s[4:5], s8, v142, v[6:7]
	ds_write_b128 v228, v[10:13] offset:28000
	v_add_u32_e32 v1, s2, v1
	global_load_dwordx4 v[10:13], v[0:1], off
	global_load_dwordx4 v[14:17], v[4:5], off offset:1136
	s_waitcnt vmcnt(0)
	v_mul_f64 v[2:3], v[12:13], v[16:17]
	v_mul_f64 v[4:5], v[10:11], v[16:17]
	v_fmac_f64_e32 v[2:3], v[10:11], v[14:15]
	v_fma_f64 v[4:5], v[12:13], v[14:15], -v[4:5]
	ds_write_b128 v228, v[2:5] offset:38000
	v_mad_u64_u32 v[4:5], s[4:5], s8, v142, v[0:1]
	scratch_store_dwordx4 off, v[14:17], off offset:248 ; 16-byte Folded Spill
	v_add_u32_e32 v5, s2, v5
	global_load_dwordx4 v[0:3], v[4:5], off
	global_load_dwordx4 v[10:13], v[8:9], off offset:2944
	s_mov_b32 s2, 0x134454ff
	s_mov_b32 s3, 0x3fee6f0e
	;; [unrolled: 1-line block ×8, first 2 shown]
	s_waitcnt vmcnt(0)
	v_mul_f64 v[4:5], v[2:3], v[12:13]
	v_fmac_f64_e32 v[4:5], v[0:1], v[10:11]
	v_mul_f64 v[0:1], v[0:1], v[12:13]
	v_fma_f64 v[6:7], v[2:3], v[10:11], -v[0:1]
	v_accvgpr_write_b32 a95, v13
	v_accvgpr_write_b32 a94, v12
	;; [unrolled: 1-line block ×4, first 2 shown]
	ds_write_b128 v228, v[4:7] offset:48000
	s_waitcnt lgkmcnt(0)
	s_barrier
	ds_read_b128 v[0:3], v228
	ds_read_b128 v[80:83], v228 offset:10000
	ds_read_b128 v[84:87], v228 offset:20000
	;; [unrolled: 1-line block ×24, first 2 shown]
	s_waitcnt lgkmcnt(14)
	v_add_f64 v[24:25], v[0:1], v[80:81]
	v_add_f64 v[24:25], v[24:25], v[84:85]
	;; [unrolled: 1-line block ×5, first 2 shown]
	v_fma_f64 v[24:25], -0.5, v[24:25], v[0:1]
	v_add_f64 v[26:27], v[82:83], -v[116:117]
	v_fma_f64 v[40:41], s[2:3], v[26:27], v[24:25]
	v_add_f64 v[38:39], v[86:87], -v[90:91]
	v_add_f64 v[42:43], v[80:81], -v[84:85]
	;; [unrolled: 1-line block ×3, first 2 shown]
	v_fmac_f64_e32 v[24:25], s[12:13], v[26:27]
	v_fmac_f64_e32 v[40:41], s[8:9], v[38:39]
	v_add_f64 v[42:43], v[42:43], v[56:57]
	v_fmac_f64_e32 v[24:25], s[10:11], v[38:39]
	v_fmac_f64_e32 v[40:41], s[4:5], v[42:43]
	;; [unrolled: 1-line block ×3, first 2 shown]
	v_add_f64 v[42:43], v[80:81], v[114:115]
	v_fmac_f64_e32 v[0:1], -0.5, v[42:43]
	v_fma_f64 v[56:57], s[12:13], v[38:39], v[0:1]
	v_fmac_f64_e32 v[0:1], s[2:3], v[38:39]
	v_fmac_f64_e32 v[56:57], s[8:9], v[26:27]
	;; [unrolled: 1-line block ×3, first 2 shown]
	v_add_f64 v[26:27], v[2:3], v[82:83]
	v_add_f64 v[26:27], v[26:27], v[86:87]
	;; [unrolled: 1-line block ×3, first 2 shown]
	v_add_f64 v[42:43], v[84:85], -v[80:81]
	v_add_f64 v[58:59], v[88:89], -v[114:115]
	v_add_f64 v[38:39], v[26:27], v[116:117]
	v_add_f64 v[26:27], v[86:87], v[90:91]
	;; [unrolled: 1-line block ×3, first 2 shown]
	v_fma_f64 v[26:27], -0.5, v[26:27], v[2:3]
	v_add_f64 v[80:81], v[80:81], -v[114:115]
	v_fmac_f64_e32 v[56:57], s[4:5], v[42:43]
	v_fmac_f64_e32 v[0:1], s[4:5], v[42:43]
	v_fma_f64 v[42:43], s[12:13], v[80:81], v[26:27]
	v_add_f64 v[84:85], v[84:85], -v[88:89]
	v_add_f64 v[58:59], v[82:83], -v[86:87]
	v_add_f64 v[88:89], v[116:117], -v[90:91]
	v_fmac_f64_e32 v[26:27], s[2:3], v[80:81]
	v_fmac_f64_e32 v[42:43], s[10:11], v[84:85]
	v_add_f64 v[58:59], v[58:59], v[88:89]
	v_fmac_f64_e32 v[26:27], s[8:9], v[84:85]
	v_fmac_f64_e32 v[42:43], s[4:5], v[58:59]
	;; [unrolled: 1-line block ×3, first 2 shown]
	v_add_f64 v[58:59], v[82:83], v[116:117]
	v_fmac_f64_e32 v[2:3], -0.5, v[58:59]
	v_fma_f64 v[58:59], s[2:3], v[84:85], v[2:3]
	v_fmac_f64_e32 v[2:3], s[12:13], v[84:85]
	v_fmac_f64_e32 v[58:59], s[10:11], v[80:81]
	;; [unrolled: 1-line block ×3, first 2 shown]
	v_add_f64 v[80:81], v[4:5], v[96:97]
	v_add_f64 v[80:81], v[80:81], v[102:103]
	v_add_f64 v[82:83], v[86:87], -v[82:83]
	v_add_f64 v[86:87], v[90:91], -v[116:117]
	v_add_f64 v[80:81], v[80:81], v[106:107]
	v_add_f64 v[82:83], v[82:83], v[86:87]
	;; [unrolled: 1-line block ×4, first 2 shown]
	v_fmac_f64_e32 v[58:59], s[4:5], v[82:83]
	v_fmac_f64_e32 v[2:3], s[4:5], v[82:83]
	v_fma_f64 v[80:81], -0.5, v[80:81], v[4:5]
	v_add_f64 v[82:83], v[98:99], -v[112:113]
	v_fma_f64 v[88:89], s[2:3], v[82:83], v[80:81]
	v_add_f64 v[86:87], v[104:105], -v[108:109]
	v_add_f64 v[90:91], v[96:97], -v[102:103]
	;; [unrolled: 1-line block ×3, first 2 shown]
	v_fmac_f64_e32 v[80:81], s[12:13], v[82:83]
	v_fmac_f64_e32 v[88:89], s[8:9], v[86:87]
	v_add_f64 v[90:91], v[90:91], v[100:101]
	v_fmac_f64_e32 v[80:81], s[10:11], v[86:87]
	v_fmac_f64_e32 v[88:89], s[4:5], v[90:91]
	;; [unrolled: 1-line block ×3, first 2 shown]
	v_add_f64 v[90:91], v[96:97], v[110:111]
	v_fmac_f64_e32 v[4:5], -0.5, v[90:91]
	v_fma_f64 v[100:101], s[12:13], v[86:87], v[4:5]
	v_fmac_f64_e32 v[4:5], s[2:3], v[86:87]
	v_fmac_f64_e32 v[100:101], s[8:9], v[82:83]
	;; [unrolled: 1-line block ×3, first 2 shown]
	v_add_f64 v[82:83], v[6:7], v[98:99]
	v_add_f64 v[82:83], v[82:83], v[104:105]
	;; [unrolled: 1-line block ×3, first 2 shown]
	v_add_f64 v[90:91], v[102:103], -v[96:97]
	v_add_f64 v[114:115], v[106:107], -v[110:111]
	v_add_f64 v[86:87], v[82:83], v[112:113]
	v_add_f64 v[82:83], v[104:105], v[108:109]
	;; [unrolled: 1-line block ×3, first 2 shown]
	v_fma_f64 v[82:83], -0.5, v[82:83], v[6:7]
	v_add_f64 v[96:97], v[96:97], -v[110:111]
	v_fmac_f64_e32 v[100:101], s[4:5], v[90:91]
	v_fmac_f64_e32 v[4:5], s[4:5], v[90:91]
	v_fma_f64 v[90:91], s[12:13], v[96:97], v[82:83]
	v_add_f64 v[106:107], v[102:103], -v[106:107]
	v_add_f64 v[102:103], v[98:99], -v[104:105]
	;; [unrolled: 1-line block ×3, first 2 shown]
	v_fmac_f64_e32 v[82:83], s[2:3], v[96:97]
	v_fmac_f64_e32 v[90:91], s[10:11], v[106:107]
	v_add_f64 v[102:103], v[102:103], v[110:111]
	v_fmac_f64_e32 v[82:83], s[8:9], v[106:107]
	v_fmac_f64_e32 v[90:91], s[4:5], v[102:103]
	;; [unrolled: 1-line block ×3, first 2 shown]
	v_add_f64 v[102:103], v[98:99], v[112:113]
	v_fmac_f64_e32 v[6:7], -0.5, v[102:103]
	v_fma_f64 v[102:103], s[2:3], v[106:107], v[6:7]
	v_fmac_f64_e32 v[6:7], s[12:13], v[106:107]
	v_fmac_f64_e32 v[102:103], s[10:11], v[96:97]
	;; [unrolled: 1-line block ×3, first 2 shown]
	s_waitcnt lgkmcnt(13)
	v_add_f64 v[96:97], v[8:9], v[68:69]
	s_waitcnt lgkmcnt(12)
	v_add_f64 v[96:97], v[96:97], v[72:73]
	v_add_f64 v[98:99], v[104:105], -v[98:99]
	v_add_f64 v[104:105], v[108:109], -v[112:113]
	s_waitcnt lgkmcnt(11)
	v_add_f64 v[96:97], v[96:97], v[76:77]
	v_add_f64 v[98:99], v[98:99], v[104:105]
	s_waitcnt lgkmcnt(10)
	v_add_f64 v[104:105], v[96:97], v[92:93]
	v_add_f64 v[96:97], v[72:73], v[76:77]
	v_fmac_f64_e32 v[102:103], s[4:5], v[98:99]
	v_fmac_f64_e32 v[6:7], s[4:5], v[98:99]
	v_fma_f64 v[96:97], -0.5, v[96:97], v[8:9]
	v_add_f64 v[98:99], v[70:71], -v[94:95]
	v_fma_f64 v[108:109], s[2:3], v[98:99], v[96:97]
	v_add_f64 v[106:107], v[74:75], -v[78:79]
	v_add_f64 v[110:111], v[68:69], -v[72:73]
	v_add_f64 v[112:113], v[92:93], -v[76:77]
	v_fmac_f64_e32 v[96:97], s[12:13], v[98:99]
	v_fmac_f64_e32 v[108:109], s[8:9], v[106:107]
	v_add_f64 v[110:111], v[110:111], v[112:113]
	v_fmac_f64_e32 v[96:97], s[10:11], v[106:107]
	v_fmac_f64_e32 v[108:109], s[4:5], v[110:111]
	;; [unrolled: 1-line block ×3, first 2 shown]
	v_add_f64 v[110:111], v[68:69], v[92:93]
	v_fmac_f64_e32 v[8:9], -0.5, v[110:111]
	v_fma_f64 v[112:113], s[12:13], v[106:107], v[8:9]
	v_fmac_f64_e32 v[8:9], s[2:3], v[106:107]
	v_fmac_f64_e32 v[112:113], s[8:9], v[98:99]
	;; [unrolled: 1-line block ×3, first 2 shown]
	v_add_f64 v[98:99], v[10:11], v[70:71]
	v_add_f64 v[98:99], v[98:99], v[74:75]
	;; [unrolled: 1-line block ×3, first 2 shown]
	v_add_f64 v[110:111], v[72:73], -v[68:69]
	v_add_f64 v[114:115], v[76:77], -v[92:93]
	v_add_f64 v[106:107], v[98:99], v[94:95]
	v_add_f64 v[98:99], v[74:75], v[78:79]
	;; [unrolled: 1-line block ×3, first 2 shown]
	v_fma_f64 v[98:99], -0.5, v[98:99], v[10:11]
	v_add_f64 v[68:69], v[68:69], -v[92:93]
	v_fmac_f64_e32 v[112:113], s[4:5], v[110:111]
	v_fmac_f64_e32 v[8:9], s[4:5], v[110:111]
	v_fma_f64 v[110:111], s[12:13], v[68:69], v[98:99]
	v_add_f64 v[72:73], v[72:73], -v[76:77]
	v_add_f64 v[76:77], v[70:71], -v[74:75]
	v_add_f64 v[92:93], v[94:95], -v[78:79]
	v_fmac_f64_e32 v[98:99], s[2:3], v[68:69]
	v_fmac_f64_e32 v[110:111], s[10:11], v[72:73]
	v_add_f64 v[76:77], v[76:77], v[92:93]
	v_fmac_f64_e32 v[98:99], s[8:9], v[72:73]
	v_fmac_f64_e32 v[110:111], s[4:5], v[76:77]
	;; [unrolled: 1-line block ×3, first 2 shown]
	v_add_f64 v[76:77], v[70:71], v[94:95]
	v_fmac_f64_e32 v[10:11], -0.5, v[76:77]
	v_fma_f64 v[114:115], s[2:3], v[72:73], v[10:11]
	v_fmac_f64_e32 v[10:11], s[12:13], v[72:73]
	v_fmac_f64_e32 v[114:115], s[10:11], v[68:69]
	;; [unrolled: 1-line block ×3, first 2 shown]
	s_waitcnt lgkmcnt(8)
	v_add_f64 v[68:69], v[12:13], v[48:49]
	s_waitcnt lgkmcnt(7)
	v_add_f64 v[68:69], v[68:69], v[52:53]
	v_add_f64 v[70:71], v[74:75], -v[70:71]
	v_add_f64 v[74:75], v[78:79], -v[94:95]
	s_waitcnt lgkmcnt(6)
	v_add_f64 v[68:69], v[68:69], v[60:61]
	v_add_f64 v[70:71], v[70:71], v[74:75]
	s_waitcnt lgkmcnt(5)
	v_add_f64 v[72:73], v[68:69], v[64:65]
	v_add_f64 v[68:69], v[52:53], v[60:61]
	v_fmac_f64_e32 v[114:115], s[4:5], v[70:71]
	v_fmac_f64_e32 v[10:11], s[4:5], v[70:71]
	v_fma_f64 v[68:69], -0.5, v[68:69], v[12:13]
	v_add_f64 v[70:71], v[50:51], -v[66:67]
	v_fma_f64 v[76:77], s[2:3], v[70:71], v[68:69]
	v_add_f64 v[74:75], v[54:55], -v[62:63]
	v_add_f64 v[78:79], v[48:49], -v[52:53]
	v_add_f64 v[92:93], v[64:65], -v[60:61]
	v_fmac_f64_e32 v[68:69], s[12:13], v[70:71]
	v_fmac_f64_e32 v[76:77], s[8:9], v[74:75]
	v_add_f64 v[78:79], v[78:79], v[92:93]
	v_fmac_f64_e32 v[68:69], s[10:11], v[74:75]
	v_fmac_f64_e32 v[76:77], s[4:5], v[78:79]
	;; [unrolled: 1-line block ×3, first 2 shown]
	v_add_f64 v[78:79], v[48:49], v[64:65]
	v_fmac_f64_e32 v[12:13], -0.5, v[78:79]
	v_fma_f64 v[92:93], s[12:13], v[74:75], v[12:13]
	v_fmac_f64_e32 v[12:13], s[2:3], v[74:75]
	v_fmac_f64_e32 v[92:93], s[8:9], v[70:71]
	;; [unrolled: 1-line block ×3, first 2 shown]
	v_add_f64 v[70:71], v[14:15], v[50:51]
	v_add_f64 v[70:71], v[70:71], v[54:55]
	v_add_f64 v[70:71], v[70:71], v[62:63]
	v_add_f64 v[78:79], v[52:53], -v[48:49]
	v_add_f64 v[94:95], v[60:61], -v[64:65]
	v_add_f64 v[74:75], v[70:71], v[66:67]
	v_add_f64 v[70:71], v[54:55], v[62:63]
	;; [unrolled: 1-line block ×3, first 2 shown]
	v_fma_f64 v[70:71], -0.5, v[70:71], v[14:15]
	v_add_f64 v[48:49], v[48:49], -v[64:65]
	v_fmac_f64_e32 v[92:93], s[4:5], v[78:79]
	v_fmac_f64_e32 v[12:13], s[4:5], v[78:79]
	v_fma_f64 v[78:79], s[12:13], v[48:49], v[70:71]
	v_add_f64 v[52:53], v[52:53], -v[60:61]
	v_add_f64 v[60:61], v[50:51], -v[54:55]
	;; [unrolled: 1-line block ×3, first 2 shown]
	v_fmac_f64_e32 v[70:71], s[2:3], v[48:49]
	v_fmac_f64_e32 v[78:79], s[10:11], v[52:53]
	v_add_f64 v[60:61], v[60:61], v[64:65]
	v_fmac_f64_e32 v[70:71], s[8:9], v[52:53]
	v_fmac_f64_e32 v[78:79], s[4:5], v[60:61]
	v_fmac_f64_e32 v[70:71], s[4:5], v[60:61]
	v_add_f64 v[60:61], v[50:51], v[66:67]
	v_fmac_f64_e32 v[14:15], -0.5, v[60:61]
	v_fma_f64 v[94:95], s[2:3], v[52:53], v[14:15]
	v_add_f64 v[50:51], v[54:55], -v[50:51]
	v_add_f64 v[54:55], v[62:63], -v[66:67]
	v_fmac_f64_e32 v[14:15], s[12:13], v[52:53]
	v_fmac_f64_e32 v[94:95], s[10:11], v[48:49]
	v_add_f64 v[50:51], v[50:51], v[54:55]
	v_fmac_f64_e32 v[14:15], s[8:9], v[48:49]
	v_fmac_f64_e32 v[94:95], s[4:5], v[50:51]
	;; [unrolled: 1-line block ×3, first 2 shown]
	s_waitcnt lgkmcnt(1)
	v_add_f64 v[50:51], v[28:29], v[32:33]
	v_fma_f64 v[52:53], -0.5, v[50:51], v[16:17]
	s_waitcnt lgkmcnt(0)
	v_add_f64 v[50:51], v[22:23], -v[46:47]
	v_fma_f64 v[60:61], s[2:3], v[50:51], v[52:53]
	v_add_f64 v[54:55], v[30:31], -v[34:35]
	v_add_f64 v[62:63], v[20:21], -v[28:29]
	;; [unrolled: 1-line block ×3, first 2 shown]
	v_fmac_f64_e32 v[52:53], s[12:13], v[50:51]
	v_fmac_f64_e32 v[60:61], s[8:9], v[54:55]
	v_add_f64 v[62:63], v[62:63], v[64:65]
	v_fmac_f64_e32 v[52:53], s[10:11], v[54:55]
	v_fmac_f64_e32 v[60:61], s[4:5], v[62:63]
	;; [unrolled: 1-line block ×3, first 2 shown]
	v_add_f64 v[62:63], v[20:21], v[44:45]
	v_add_f64 v[48:49], v[16:17], v[20:21]
	v_fmac_f64_e32 v[16:17], -0.5, v[62:63]
	v_add_f64 v[48:49], v[48:49], v[28:29]
	v_fma_f64 v[64:65], s[12:13], v[54:55], v[16:17]
	v_add_f64 v[62:63], v[28:29], -v[20:21]
	v_add_f64 v[66:67], v[32:33], -v[44:45]
	v_fmac_f64_e32 v[16:17], s[2:3], v[54:55]
	v_add_f64 v[54:55], v[30:31], v[34:35]
	v_add_f64 v[48:49], v[48:49], v[32:33]
	v_fmac_f64_e32 v[64:65], s[8:9], v[50:51]
	v_add_f64 v[62:63], v[62:63], v[66:67]
	v_fmac_f64_e32 v[16:17], s[10:11], v[50:51]
	v_fma_f64 v[54:55], -0.5, v[54:55], v[18:19]
	v_add_f64 v[20:21], v[20:21], -v[44:45]
	v_add_f64 v[48:49], v[48:49], v[44:45]
	v_fmac_f64_e32 v[64:65], s[4:5], v[62:63]
	v_fmac_f64_e32 v[16:17], s[4:5], v[62:63]
	v_fma_f64 v[62:63], s[12:13], v[20:21], v[54:55]
	v_add_f64 v[28:29], v[28:29], -v[32:33]
	v_add_f64 v[32:33], v[22:23], -v[30:31]
	;; [unrolled: 1-line block ×3, first 2 shown]
	v_fmac_f64_e32 v[54:55], s[2:3], v[20:21]
	v_fmac_f64_e32 v[62:63], s[10:11], v[28:29]
	v_add_f64 v[32:33], v[32:33], v[44:45]
	v_fmac_f64_e32 v[54:55], s[8:9], v[28:29]
	v_fmac_f64_e32 v[62:63], s[4:5], v[32:33]
	;; [unrolled: 1-line block ×3, first 2 shown]
	v_add_f64 v[32:33], v[22:23], v[46:47]
	v_add_f64 v[50:51], v[18:19], v[22:23]
	v_fmac_f64_e32 v[18:19], -0.5, v[32:33]
	v_fma_f64 v[66:67], s[2:3], v[28:29], v[18:19]
	v_fmac_f64_e32 v[18:19], s[12:13], v[28:29]
	v_fmac_f64_e32 v[66:67], s[10:11], v[20:21]
	;; [unrolled: 1-line block ×3, first 2 shown]
	v_mul_lo_u16_e32 v20, 5, v176
	v_lshlrev_b32_e32 v236, 4, v20
	s_barrier
	ds_write_b128 v236, v[36:39]
	ds_write_b128 v236, v[40:43] offset:16
	ds_write_b128 v236, v[56:59] offset:32
	ds_write_b128 v236, v[0:3] offset:48
	ds_write_b128 v236, v[24:27] offset:64
	v_mul_u32_u24_e32 v0, 5, v184
	v_lshlrev_b32_e32 v235, 4, v0
	ds_write_b128 v235, v[84:87]
	ds_write_b128 v235, v[88:91] offset:16
	ds_write_b128 v235, v[100:103] offset:32
	;; [unrolled: 1-line block ×4, first 2 shown]
	v_mul_lo_u16_sdwa v100, v176, s15 dst_sel:DWORD dst_unused:UNUSED_PAD src0_sel:BYTE_0 src1_sel:DWORD
	v_lshrrev_b16_e32 v167, 10, v100
	v_mul_u32_u24_e32 v0, 5, v182
	v_mul_lo_u16_e32 v100, 5, v167
	v_add_f64 v[50:51], v[50:51], v[30:31]
	v_add_f64 v[22:23], v[30:31], -v[22:23]
	v_add_f64 v[30:31], v[34:35], -v[46:47]
	v_lshlrev_b32_e32 v234, 4, v0
	v_mul_u32_u24_e32 v0, 5, v180
	v_sub_u16_e32 v100, v176, v100
	v_add_f64 v[50:51], v[50:51], v[34:35]
	v_add_f64 v[22:23], v[22:23], v[30:31]
	v_lshlrev_b32_e32 v233, 4, v0
	v_mul_u32_u24_e32 v0, 5, v172
	v_and_b32_e32 v168, 0xff, v100
	v_add_f64 v[50:51], v[50:51], v[46:47]
	v_fmac_f64_e32 v[66:67], s[4:5], v[22:23]
	v_fmac_f64_e32 v[18:19], s[4:5], v[22:23]
	v_lshlrev_b32_e32 v232, 4, v0
	v_lshlrev_b32_e32 v100, 6, v168
	ds_write_b128 v234, v[104:107]
	ds_write_b128 v234, v[108:111] offset:16
	ds_write_b128 v234, v[112:115] offset:32
	ds_write_b128 v234, v[8:11] offset:48
	ds_write_b128 v234, v[96:99] offset:64
	ds_write_b128 v233, v[72:75]
	ds_write_b128 v233, v[76:79] offset:16
	ds_write_b128 v233, v[92:95] offset:32
	ds_write_b128 v233, v[12:15] offset:48
	ds_write_b128 v233, v[68:71] offset:64
	;; [unrolled: 5-line block ×3, first 2 shown]
	s_waitcnt lgkmcnt(0)
	s_barrier
	ds_read_b128 v[16:19], v228
	ds_read_b128 v[96:99], v228 offset:10000
	ds_read_b128 v[92:95], v228 offset:20000
	;; [unrolled: 1-line block ×24, first 2 shown]
	global_load_dwordx4 v[108:111], v100, s[6:7] offset:48
	global_load_dwordx4 v[112:115], v100, s[6:7] offset:32
	;; [unrolled: 1-line block ×3, first 2 shown]
	global_load_dwordx4 v[104:107], v100, s[6:7]
	s_waitcnt vmcnt(3)
	v_accvgpr_write_b32 a104, v108
	s_waitcnt vmcnt(2)
	v_accvgpr_write_b32 a108, v112
	v_accvgpr_write_b32 a109, v113
	s_waitcnt vmcnt(0) lgkmcnt(14)
	v_mul_f64 v[100:101], v[98:99], v[106:107]
	v_fma_f64 v[102:103], v[96:97], v[104:105], -v[100:101]
	v_mul_f64 v[100:101], v[96:97], v[106:107]
	v_accvgpr_write_b32 a115, v107
	v_mul_f64 v[96:97], v[94:95], v[242:243]
	v_fmac_f64_e32 v[100:101], v[98:99], v[104:105]
	v_accvgpr_write_b32 a114, v106
	v_accvgpr_write_b32 a113, v105
	;; [unrolled: 1-line block ×3, first 2 shown]
	v_fma_f64 v[104:105], v[92:93], v[240:241], -v[96:97]
	v_mul_f64 v[92:93], v[92:93], v[242:243]
	v_fmac_f64_e32 v[92:93], v[94:95], v[240:241]
	v_mul_f64 v[94:95], v[90:91], v[114:115]
	v_fma_f64 v[106:107], v[88:89], v[112:113], -v[94:95]
	v_mul_f64 v[94:95], v[88:89], v[114:115]
	v_mul_f64 v[88:89], v[86:87], v[110:111]
	v_fmac_f64_e32 v[94:95], v[90:91], v[112:113]
	v_fma_f64 v[90:91], v[84:85], v[108:109], -v[88:89]
	v_mul_f64 v[84:85], v[84:85], v[110:111]
	v_fmac_f64_e32 v[84:85], v[86:87], v[108:109]
	v_mul_lo_u16_sdwa v86, v184, s15 dst_sel:DWORD dst_unused:UNUSED_PAD src0_sel:BYTE_0 src1_sel:DWORD
	v_lshrrev_b16_e32 v165, 10, v86
	v_mul_lo_u16_e32 v86, 5, v165
	v_sub_u16_e32 v86, v184, v86
	v_and_b32_e32 v166, 0xff, v86
	v_lshlrev_b32_e32 v86, 6, v166
	v_accvgpr_write_b32 a110, v114
	v_accvgpr_write_b32 a111, v115
	;; [unrolled: 1-line block ×5, first 2 shown]
	global_load_dwordx4 v[96:99], v86, s[6:7] offset:48
	global_load_dwordx4 v[116:119], v86, s[6:7] offset:32
	;; [unrolled: 1-line block ×3, first 2 shown]
	global_load_dwordx4 v[120:123], v86, s[6:7]
	s_mov_b32 s15, 0xcccd
	s_waitcnt vmcnt(3)
	v_accvgpr_write_b32 a119, v99
	s_waitcnt vmcnt(2)
	v_accvgpr_write_b32 a123, v119
	v_accvgpr_write_b32 a122, v118
	s_waitcnt vmcnt(0)
	v_mul_f64 v[86:87], v[82:83], v[122:123]
	v_mul_f64 v[108:109], v[80:81], v[122:123]
	v_accvgpr_write_b32 a131, v123
	v_fma_f64 v[86:87], v[80:81], v[120:121], -v[86:87]
	v_fmac_f64_e32 v[108:109], v[82:83], v[120:121]
	v_accvgpr_write_b32 a130, v122
	v_accvgpr_write_b32 a129, v121
	;; [unrolled: 1-line block ×3, first 2 shown]
	v_mov_b64_e32 v[122:123], v[112:113]
	v_mov_b64_e32 v[120:121], v[110:111]
	v_mul_f64 v[80:81], v[78:79], v[122:123]
	v_fma_f64 v[114:115], v[76:77], v[120:121], -v[80:81]
	v_mul_f64 v[110:111], v[76:77], v[122:123]
	v_mul_f64 v[76:77], v[74:75], v[118:119]
	v_fmac_f64_e32 v[110:111], v[78:79], v[120:121]
	v_fma_f64 v[78:79], v[72:73], v[116:117], -v[76:77]
	v_mul_f64 v[112:113], v[72:73], v[118:119]
	v_mul_f64 v[72:73], v[70:71], v[98:99]
	v_fmac_f64_e32 v[112:113], v[74:75], v[116:117]
	v_accvgpr_write_b32 a121, v117
	v_accvgpr_write_b32 a120, v116
	v_fma_f64 v[116:117], v[68:69], v[96:97], -v[72:73]
	v_mul_f64 v[68:69], v[68:69], v[98:99]
	v_fmac_f64_e32 v[68:69], v[70:71], v[96:97]
	v_mul_u32_u24_sdwa v70, v182, s15 dst_sel:DWORD dst_unused:UNUSED_PAD src0_sel:WORD_0 src1_sel:DWORD
	v_lshrrev_b32_e32 v163, 18, v70
	v_mul_lo_u16_e32 v70, 5, v163
	v_sub_u16_e32 v164, v182, v70
	v_lshlrev_b16_e32 v70, 2, v164
	v_accvgpr_write_b32 a127, v123
	v_lshlrev_b32_e32 v70, 4, v70
	v_accvgpr_write_b32 a126, v122
	v_accvgpr_write_b32 a125, v121
	;; [unrolled: 1-line block ×6, first 2 shown]
	global_load_dwordx4 v[72:75], v70, s[6:7] offset:48
	global_load_dwordx4 v[80:83], v70, s[6:7] offset:32
	;; [unrolled: 1-line block ×3, first 2 shown]
	global_load_dwordx4 v[118:121], v70, s[6:7]
	s_waitcnt vmcnt(3) lgkmcnt(10)
	v_mul_f64 v[126:127], v[52:53], v[74:75]
	v_accvgpr_write_b32 a139, v75
	v_fmac_f64_e32 v[126:127], v[54:55], v[72:73]
	s_waitcnt vmcnt(0)
	v_mul_f64 v[70:71], v[66:67], v[120:121]
	v_mov_b64_e32 v[124:125], v[120:121]
	v_fma_f64 v[128:129], v[64:65], v[118:119], -v[70:71]
	v_mov_b64_e32 v[122:123], v[118:119]
	v_mul_f64 v[120:121], v[64:65], v[124:125]
	v_accvgpr_write_b32 a135, v125
	v_mul_f64 v[64:65], v[62:63], v[98:99]
	v_fmac_f64_e32 v[120:121], v[66:67], v[122:123]
	v_accvgpr_write_b32 a134, v124
	v_accvgpr_write_b32 a133, v123
	;; [unrolled: 1-line block ×3, first 2 shown]
	v_fma_f64 v[130:131], v[60:61], v[96:97], -v[64:65]
	v_mul_f64 v[122:123], v[60:61], v[98:99]
	v_mul_f64 v[60:61], v[58:59], v[82:83]
	v_fma_f64 v[132:133], v[56:57], v[80:81], -v[60:61]
	v_mul_f64 v[124:125], v[56:57], v[82:83]
	v_mul_f64 v[56:57], v[54:55], v[74:75]
	v_fmac_f64_e32 v[124:125], v[58:59], v[80:81]
	v_fma_f64 v[58:59], v[52:53], v[72:73], -v[56:57]
	v_mul_u32_u24_sdwa v52, v180, s15 dst_sel:DWORD dst_unused:UNUSED_PAD src0_sel:WORD_0 src1_sel:DWORD
	v_lshrrev_b32_e32 v143, 18, v52
	v_mul_lo_u16_e32 v52, 5, v143
	v_sub_u16_e32 v160, v180, v52
	v_lshlrev_b16_e32 v52, 2, v160
	v_lshlrev_b32_e32 v52, 4, v52
	v_fmac_f64_e32 v[122:123], v[62:63], v[96:97]
	v_accvgpr_write_b32 a138, v74
	v_accvgpr_write_b32 a137, v73
	;; [unrolled: 1-line block ×3, first 2 shown]
	global_load_dwordx4 v[54:57], v52, s[6:7] offset:48
	global_load_dwordx4 v[60:63], v52, s[6:7] offset:32
	;; [unrolled: 1-line block ×3, first 2 shown]
	global_load_dwordx4 v[70:73], v52, s[6:7]
	v_accvgpr_write_b32 a147, v99
	v_accvgpr_write_b32 a146, v98
	v_accvgpr_write_b32 a145, v97
	v_accvgpr_write_b32 a144, v96
	v_accvgpr_write_b32 a143, v83
	v_accvgpr_write_b32 a142, v82
	v_accvgpr_write_b32 a141, v81
	v_accvgpr_write_b32 a140, v80
	s_waitcnt vmcnt(3)
	v_accvgpr_write_b32 a163, v57
	s_waitcnt vmcnt(2)
	v_accvgpr_write_b32 a159, v63
	s_waitcnt vmcnt(1) lgkmcnt(7)
	v_mul_f64 v[144:145], v[44:45], v[66:67]
	s_waitcnt vmcnt(0)
	v_mul_f64 v[52:53], v[50:51], v[72:73]
	v_fma_f64 v[146:147], v[48:49], v[70:71], -v[52:53]
	v_mul_f64 v[134:135], v[48:49], v[72:73]
	v_mul_f64 v[48:49], v[46:47], v[66:67]
	v_fma_f64 v[118:119], v[44:45], v[64:65], -v[48:49]
	s_waitcnt lgkmcnt(6)
	v_mul_f64 v[44:45], v[42:43], v[62:63]
	v_fma_f64 v[152:153], v[40:41], v[60:61], -v[44:45]
	v_mul_f64 v[40:41], v[40:41], v[62:63]
	v_fmac_f64_e32 v[40:41], v[42:43], v[60:61]
	s_waitcnt lgkmcnt(5)
	v_mul_f64 v[42:43], v[38:39], v[56:57]
	v_fma_f64 v[42:43], v[36:37], v[54:55], -v[42:43]
	v_mul_f64 v[36:37], v[36:37], v[56:57]
	v_fmac_f64_e32 v[36:37], v[38:39], v[54:55]
	v_mul_u32_u24_sdwa v38, v172, s15 dst_sel:DWORD dst_unused:UNUSED_PAD src0_sel:WORD_0 src1_sel:DWORD
	v_lshrrev_b32_e32 v161, 18, v38
	v_mul_lo_u16_e32 v38, 5, v161
	v_sub_u16_e32 v162, v172, v38
	v_lshlrev_b16_e32 v38, 2, v162
	v_lshlrev_b32_e32 v38, 4, v38
	v_fmac_f64_e32 v[134:135], v[50:51], v[70:71]
	v_fmac_f64_e32 v[144:145], v[46:47], v[64:65]
	v_accvgpr_write_b32 a158, v62
	v_accvgpr_write_b32 a157, v61
	;; [unrolled: 1-line block ×6, first 2 shown]
	global_load_dwordx4 v[44:47], v38, s[6:7] offset:48
	global_load_dwordx4 v[48:51], v38, s[6:7] offset:32
	;; [unrolled: 1-line block ×3, first 2 shown]
	global_load_dwordx4 v[60:63], v38, s[6:7]
	v_accvgpr_write_b32 a151, v73
	v_accvgpr_write_b32 a150, v72
	;; [unrolled: 1-line block ×8, first 2 shown]
	s_waitcnt lgkmcnt(0)
	s_barrier
	s_movk_i32 s15, 0x47af
	s_waitcnt vmcnt(3)
	v_mul_f64 v[148:149], v[20:21], v[46:47]
	s_waitcnt vmcnt(2)
	v_mul_f64 v[156:157], v[24:25], v[50:51]
	;; [unrolled: 2-line block ×4, first 2 shown]
	v_fma_f64 v[140:141], v[32:33], v[60:61], -v[38:39]
	v_mul_f64 v[154:155], v[32:33], v[62:63]
	v_mul_f64 v[32:33], v[30:31], v[54:55]
	v_fma_f64 v[158:159], v[28:29], v[52:53], -v[32:33]
	v_mul_f64 v[28:29], v[26:27], v[50:51]
	v_fma_f64 v[150:151], v[24:25], v[48:49], -v[28:29]
	v_mul_f64 v[24:25], v[22:23], v[46:47]
	v_fmac_f64_e32 v[154:155], v[34:35], v[60:61]
	v_fma_f64 v[34:35], v[20:21], v[44:45], -v[24:25]
	v_add_f64 v[20:21], v[16:17], v[102:103]
	v_add_f64 v[20:21], v[20:21], v[104:105]
	;; [unrolled: 1-line block ×5, first 2 shown]
	v_fma_f64 v[72:73], -0.5, v[20:21], v[16:17]
	v_add_f64 v[20:21], v[100:101], -v[84:85]
	v_fmac_f64_e32 v[156:157], v[26:27], v[48:49]
	v_fmac_f64_e32 v[148:149], v[22:23], v[44:45]
	v_fma_f64 v[88:89], s[2:3], v[20:21], v[72:73]
	v_add_f64 v[22:23], v[92:93], -v[94:95]
	v_add_f64 v[24:25], v[102:103], -v[104:105]
	v_add_f64 v[26:27], v[90:91], -v[106:107]
	v_fmac_f64_e32 v[72:73], s[12:13], v[20:21]
	v_fmac_f64_e32 v[88:89], s[8:9], v[22:23]
	v_add_f64 v[24:25], v[24:25], v[26:27]
	v_fmac_f64_e32 v[72:73], s[10:11], v[22:23]
	v_fmac_f64_e32 v[88:89], s[4:5], v[24:25]
	v_fmac_f64_e32 v[72:73], s[4:5], v[24:25]
	v_add_f64 v[24:25], v[102:103], v[90:91]
	v_fmac_f64_e32 v[16:17], -0.5, v[24:25]
	v_fma_f64 v[80:81], s[12:13], v[22:23], v[16:17]
	v_fmac_f64_e32 v[16:17], s[2:3], v[22:23]
	v_fmac_f64_e32 v[80:81], s[8:9], v[20:21]
	v_fmac_f64_e32 v[16:17], s[10:11], v[20:21]
	v_add_f64 v[20:21], v[18:19], v[100:101]
	v_add_f64 v[20:21], v[20:21], v[92:93]
	v_add_f64 v[20:21], v[20:21], v[94:95]
	v_add_f64 v[24:25], v[104:105], -v[102:103]
	v_add_f64 v[26:27], v[106:107], -v[90:91]
	v_add_f64 v[98:99], v[20:21], v[84:85]
	v_add_f64 v[20:21], v[92:93], v[94:95]
	v_add_f64 v[24:25], v[24:25], v[26:27]
	v_fma_f64 v[74:75], -0.5, v[20:21], v[18:19]
	v_add_f64 v[20:21], v[102:103], -v[90:91]
	v_fmac_f64_e32 v[80:81], s[4:5], v[24:25]
	v_fmac_f64_e32 v[16:17], s[4:5], v[24:25]
	v_fma_f64 v[90:91], s[12:13], v[20:21], v[74:75]
	v_add_f64 v[22:23], v[104:105], -v[106:107]
	v_add_f64 v[24:25], v[100:101], -v[92:93]
	v_add_f64 v[26:27], v[84:85], -v[94:95]
	v_fmac_f64_e32 v[74:75], s[2:3], v[20:21]
	v_fmac_f64_e32 v[90:91], s[10:11], v[22:23]
	v_add_f64 v[24:25], v[24:25], v[26:27]
	v_fmac_f64_e32 v[74:75], s[8:9], v[22:23]
	v_fmac_f64_e32 v[90:91], s[4:5], v[24:25]
	v_fmac_f64_e32 v[74:75], s[4:5], v[24:25]
	v_add_f64 v[24:25], v[100:101], v[84:85]
	v_fmac_f64_e32 v[18:19], -0.5, v[24:25]
	v_fma_f64 v[82:83], s[2:3], v[22:23], v[18:19]
	v_fmac_f64_e32 v[18:19], s[12:13], v[22:23]
	v_fmac_f64_e32 v[82:83], s[10:11], v[20:21]
	v_fmac_f64_e32 v[18:19], s[8:9], v[20:21]
	v_add_f64 v[20:21], v[12:13], v[86:87]
	v_add_f64 v[20:21], v[20:21], v[114:115]
	v_add_f64 v[20:21], v[20:21], v[78:79]
	v_add_f64 v[24:25], v[92:93], -v[100:101]
	v_add_f64 v[26:27], v[94:95], -v[84:85]
	v_add_f64 v[92:93], v[20:21], v[116:117]
	v_add_f64 v[20:21], v[114:115], v[78:79]
	v_add_f64 v[24:25], v[24:25], v[26:27]
	;; [unrolled: 28-line block ×3, first 2 shown]
	v_fma_f64 v[66:67], -0.5, v[20:21], v[14:15]
	v_add_f64 v[20:21], v[86:87], -v[116:117]
	v_fmac_f64_e32 v[76:77], s[4:5], v[24:25]
	v_fmac_f64_e32 v[12:13], s[4:5], v[24:25]
	v_fma_f64 v[86:87], s[12:13], v[20:21], v[66:67]
	v_add_f64 v[22:23], v[114:115], -v[78:79]
	v_add_f64 v[24:25], v[108:109], -v[110:111]
	;; [unrolled: 1-line block ×3, first 2 shown]
	v_fmac_f64_e32 v[66:67], s[2:3], v[20:21]
	v_fmac_f64_e32 v[86:87], s[10:11], v[22:23]
	v_add_f64 v[24:25], v[24:25], v[26:27]
	v_fmac_f64_e32 v[66:67], s[8:9], v[22:23]
	v_fmac_f64_e32 v[86:87], s[4:5], v[24:25]
	;; [unrolled: 1-line block ×3, first 2 shown]
	v_add_f64 v[24:25], v[108:109], v[68:69]
	v_fmac_f64_e32 v[14:15], -0.5, v[24:25]
	v_fma_f64 v[78:79], s[2:3], v[22:23], v[14:15]
	v_fmac_f64_e32 v[14:15], s[12:13], v[22:23]
	v_fmac_f64_e32 v[78:79], s[10:11], v[20:21]
	v_fmac_f64_e32 v[14:15], s[8:9], v[20:21]
	v_add_f64 v[20:21], v[8:9], v[128:129]
	v_add_f64 v[20:21], v[20:21], v[130:131]
	;; [unrolled: 1-line block ×3, first 2 shown]
	v_accvgpr_write_b32 a171, v55
	v_add_f64 v[24:25], v[110:111], -v[108:109]
	v_add_f64 v[26:27], v[112:113], -v[68:69]
	v_add_f64 v[68:69], v[20:21], v[58:59]
	v_add_f64 v[20:21], v[130:131], v[132:133]
	v_accvgpr_write_b32 a167, v63
	v_fmac_f64_e32 v[138:139], v[30:31], v[52:53]
	v_accvgpr_write_b32 a170, v54
	v_accvgpr_write_b32 a169, v53
	;; [unrolled: 1-line block ×3, first 2 shown]
	v_add_f64 v[24:25], v[24:25], v[26:27]
	v_fma_f64 v[52:53], -0.5, v[20:21], v[8:9]
	v_add_f64 v[20:21], v[120:121], -v[126:127]
	v_accvgpr_write_b32 a166, v62
	v_accvgpr_write_b32 a165, v61
	;; [unrolled: 1-line block ×3, first 2 shown]
	v_fmac_f64_e32 v[78:79], s[4:5], v[24:25]
	v_fmac_f64_e32 v[14:15], s[4:5], v[24:25]
	v_fma_f64 v[60:61], s[2:3], v[20:21], v[52:53]
	v_add_f64 v[22:23], v[122:123], -v[124:125]
	v_add_f64 v[24:25], v[128:129], -v[130:131]
	v_add_f64 v[26:27], v[58:59], -v[132:133]
	v_fmac_f64_e32 v[52:53], s[12:13], v[20:21]
	v_fmac_f64_e32 v[60:61], s[8:9], v[22:23]
	v_add_f64 v[24:25], v[24:25], v[26:27]
	v_fmac_f64_e32 v[52:53], s[10:11], v[22:23]
	v_fmac_f64_e32 v[60:61], s[4:5], v[24:25]
	;; [unrolled: 1-line block ×3, first 2 shown]
	v_add_f64 v[24:25], v[128:129], v[58:59]
	v_fmac_f64_e32 v[8:9], -0.5, v[24:25]
	v_fma_f64 v[56:57], s[12:13], v[22:23], v[8:9]
	v_fmac_f64_e32 v[8:9], s[2:3], v[22:23]
	v_fmac_f64_e32 v[56:57], s[8:9], v[20:21]
	;; [unrolled: 1-line block ×3, first 2 shown]
	v_add_f64 v[20:21], v[10:11], v[120:121]
	v_add_f64 v[20:21], v[20:21], v[122:123]
	;; [unrolled: 1-line block ×3, first 2 shown]
	v_add_f64 v[24:25], v[130:131], -v[128:129]
	v_add_f64 v[26:27], v[132:133], -v[58:59]
	v_add_f64 v[70:71], v[20:21], v[126:127]
	v_add_f64 v[20:21], v[122:123], v[124:125]
	;; [unrolled: 1-line block ×3, first 2 shown]
	v_fma_f64 v[54:55], -0.5, v[20:21], v[10:11]
	v_add_f64 v[20:21], v[128:129], -v[58:59]
	v_fmac_f64_e32 v[56:57], s[4:5], v[24:25]
	v_fmac_f64_e32 v[8:9], s[4:5], v[24:25]
	v_fma_f64 v[62:63], s[12:13], v[20:21], v[54:55]
	v_add_f64 v[22:23], v[130:131], -v[132:133]
	v_add_f64 v[24:25], v[120:121], -v[122:123]
	;; [unrolled: 1-line block ×3, first 2 shown]
	v_fmac_f64_e32 v[54:55], s[2:3], v[20:21]
	v_fmac_f64_e32 v[62:63], s[10:11], v[22:23]
	v_add_f64 v[24:25], v[24:25], v[26:27]
	v_fmac_f64_e32 v[54:55], s[8:9], v[22:23]
	v_fmac_f64_e32 v[62:63], s[4:5], v[24:25]
	;; [unrolled: 1-line block ×3, first 2 shown]
	v_add_f64 v[24:25], v[120:121], v[126:127]
	v_fmac_f64_e32 v[10:11], -0.5, v[24:25]
	v_fma_f64 v[58:59], s[2:3], v[22:23], v[10:11]
	v_fmac_f64_e32 v[10:11], s[12:13], v[22:23]
	v_fmac_f64_e32 v[58:59], s[10:11], v[20:21]
	;; [unrolled: 1-line block ×3, first 2 shown]
	v_add_f64 v[20:21], v[4:5], v[146:147]
	v_add_f64 v[20:21], v[20:21], v[118:119]
	v_accvgpr_write_b32 a175, v51
	v_add_f64 v[20:21], v[20:21], v[152:153]
	v_accvgpr_write_b32 a174, v50
	v_accvgpr_write_b32 a173, v49
	;; [unrolled: 1-line block ×3, first 2 shown]
	v_add_f64 v[24:25], v[122:123], -v[120:121]
	v_add_f64 v[26:27], v[124:125], -v[126:127]
	v_add_f64 v[48:49], v[20:21], v[42:43]
	v_add_f64 v[20:21], v[118:119], v[152:153]
	v_accvgpr_write_b32 a179, v47
	v_add_f64 v[24:25], v[24:25], v[26:27]
	v_fma_f64 v[20:21], -0.5, v[20:21], v[4:5]
	v_add_f64 v[22:23], v[134:135], -v[36:37]
	v_accvgpr_write_b32 a178, v46
	v_accvgpr_write_b32 a177, v45
	;; [unrolled: 1-line block ×3, first 2 shown]
	v_fmac_f64_e32 v[58:59], s[4:5], v[24:25]
	v_fmac_f64_e32 v[10:11], s[4:5], v[24:25]
	v_fma_f64 v[44:45], s[2:3], v[22:23], v[20:21]
	v_add_f64 v[26:27], v[144:145], -v[40:41]
	v_add_f64 v[24:25], v[146:147], -v[118:119]
	;; [unrolled: 1-line block ×3, first 2 shown]
	v_fmac_f64_e32 v[20:21], s[12:13], v[22:23]
	v_fmac_f64_e32 v[44:45], s[8:9], v[26:27]
	v_add_f64 v[24:25], v[24:25], v[28:29]
	v_fmac_f64_e32 v[20:21], s[10:11], v[26:27]
	v_fmac_f64_e32 v[44:45], s[4:5], v[24:25]
	;; [unrolled: 1-line block ×3, first 2 shown]
	v_add_f64 v[24:25], v[146:147], v[42:43]
	v_fmac_f64_e32 v[4:5], -0.5, v[24:25]
	v_fma_f64 v[24:25], s[12:13], v[26:27], v[4:5]
	v_fmac_f64_e32 v[4:5], s[2:3], v[26:27]
	v_fmac_f64_e32 v[24:25], s[8:9], v[22:23]
	;; [unrolled: 1-line block ×3, first 2 shown]
	v_add_f64 v[22:23], v[6:7], v[134:135]
	v_add_f64 v[22:23], v[22:23], v[144:145]
	v_add_f64 v[28:29], v[118:119], -v[146:147]
	v_add_f64 v[30:31], v[152:153], -v[42:43]
	v_add_f64 v[22:23], v[22:23], v[40:41]
	v_add_f64 v[28:29], v[28:29], v[30:31]
	;; [unrolled: 1-line block ×4, first 2 shown]
	v_fmac_f64_e32 v[24:25], s[4:5], v[28:29]
	v_fmac_f64_e32 v[4:5], s[4:5], v[28:29]
	v_fma_f64 v[22:23], -0.5, v[22:23], v[6:7]
	v_add_f64 v[28:29], v[146:147], -v[42:43]
	v_fma_f64 v[46:47], s[12:13], v[28:29], v[22:23]
	v_add_f64 v[30:31], v[118:119], -v[152:153]
	v_add_f64 v[26:27], v[134:135], -v[144:145]
	;; [unrolled: 1-line block ×3, first 2 shown]
	v_fmac_f64_e32 v[22:23], s[2:3], v[28:29]
	v_fmac_f64_e32 v[46:47], s[10:11], v[30:31]
	v_add_f64 v[26:27], v[26:27], v[32:33]
	v_fmac_f64_e32 v[22:23], s[8:9], v[30:31]
	v_fmac_f64_e32 v[46:47], s[4:5], v[26:27]
	;; [unrolled: 1-line block ×3, first 2 shown]
	v_add_f64 v[26:27], v[134:135], v[36:37]
	v_fmac_f64_e32 v[6:7], -0.5, v[26:27]
	v_fma_f64 v[26:27], s[2:3], v[30:31], v[6:7]
	v_fmac_f64_e32 v[6:7], s[12:13], v[30:31]
	v_fmac_f64_e32 v[26:27], s[10:11], v[28:29]
	;; [unrolled: 1-line block ×3, first 2 shown]
	v_add_f64 v[28:29], v[0:1], v[140:141]
	v_add_f64 v[28:29], v[28:29], v[158:159]
	v_add_f64 v[32:33], v[144:145], -v[134:135]
	v_add_f64 v[36:37], v[40:41], -v[36:37]
	v_add_f64 v[28:29], v[28:29], v[150:151]
	v_add_f64 v[32:33], v[32:33], v[36:37]
	v_add_f64 v[36:37], v[28:29], v[34:35]
	v_add_f64 v[28:29], v[158:159], v[150:151]
	v_fma_f64 v[28:29], -0.5, v[28:29], v[0:1]
	v_add_f64 v[30:31], v[154:155], -v[148:149]
	v_fmac_f64_e32 v[26:27], s[4:5], v[32:33]
	v_fmac_f64_e32 v[6:7], s[4:5], v[32:33]
	v_fma_f64 v[32:33], s[2:3], v[30:31], v[28:29]
	v_add_f64 v[38:39], v[138:139], -v[156:157]
	v_add_f64 v[40:41], v[140:141], -v[158:159]
	v_add_f64 v[42:43], v[34:35], -v[150:151]
	v_fmac_f64_e32 v[28:29], s[12:13], v[30:31]
	v_fmac_f64_e32 v[32:33], s[8:9], v[38:39]
	v_add_f64 v[40:41], v[40:41], v[42:43]
	v_fmac_f64_e32 v[28:29], s[10:11], v[38:39]
	v_fmac_f64_e32 v[32:33], s[4:5], v[40:41]
	;; [unrolled: 1-line block ×3, first 2 shown]
	v_add_f64 v[40:41], v[140:141], v[34:35]
	v_fmac_f64_e32 v[0:1], -0.5, v[40:41]
	v_fma_f64 v[40:41], s[12:13], v[38:39], v[0:1]
	v_fmac_f64_e32 v[0:1], s[2:3], v[38:39]
	v_fmac_f64_e32 v[40:41], s[8:9], v[30:31]
	;; [unrolled: 1-line block ×3, first 2 shown]
	v_add_f64 v[30:31], v[2:3], v[154:155]
	v_add_f64 v[30:31], v[30:31], v[138:139]
	;; [unrolled: 1-line block ×3, first 2 shown]
	v_add_f64 v[42:43], v[158:159], -v[140:141]
	v_add_f64 v[100:101], v[150:151], -v[34:35]
	v_add_f64 v[38:39], v[30:31], v[148:149]
	v_add_f64 v[30:31], v[138:139], v[156:157]
	;; [unrolled: 1-line block ×3, first 2 shown]
	v_fma_f64 v[30:31], -0.5, v[30:31], v[2:3]
	v_add_f64 v[100:101], v[140:141], -v[34:35]
	v_fmac_f64_e32 v[40:41], s[4:5], v[42:43]
	v_fmac_f64_e32 v[0:1], s[4:5], v[42:43]
	v_fma_f64 v[34:35], s[12:13], v[100:101], v[30:31]
	v_add_f64 v[102:103], v[158:159], -v[150:151]
	v_add_f64 v[42:43], v[154:155], -v[138:139]
	;; [unrolled: 1-line block ×3, first 2 shown]
	v_fmac_f64_e32 v[30:31], s[2:3], v[100:101]
	v_fmac_f64_e32 v[34:35], s[10:11], v[102:103]
	v_add_f64 v[42:43], v[42:43], v[104:105]
	v_fmac_f64_e32 v[30:31], s[8:9], v[102:103]
	v_fmac_f64_e32 v[34:35], s[4:5], v[42:43]
	;; [unrolled: 1-line block ×3, first 2 shown]
	v_add_f64 v[42:43], v[154:155], v[148:149]
	v_fmac_f64_e32 v[2:3], -0.5, v[42:43]
	v_fma_f64 v[42:43], s[2:3], v[102:103], v[2:3]
	v_fmac_f64_e32 v[2:3], s[12:13], v[102:103]
	v_fmac_f64_e32 v[42:43], s[10:11], v[100:101]
	;; [unrolled: 1-line block ×3, first 2 shown]
	v_mul_u32_u24_e32 v100, 25, v167
	v_add_lshl_u32 v100, v100, v168, 4
	ds_write_b128 v100, v[96:99]
	ds_write_b128 v100, v[88:91] offset:80
	scratch_store_dword off, v100, off      ; 4-byte Folded Spill
	ds_write_b128 v100, v[80:83] offset:160
	ds_write_b128 v100, v[16:19] offset:240
	;; [unrolled: 1-line block ×3, first 2 shown]
	v_mul_u32_u24_e32 v16, 25, v165
	v_add_lshl_u32 v16, v16, v166, 4
	v_mov_b32_e32 v108, 41
	ds_write_b128 v16, v[92:95]
	ds_write_b128 v16, v[84:87] offset:80
	scratch_store_dword off, v16, off offset:4 ; 4-byte Folded Spill
	ds_write_b128 v16, v[76:79] offset:160
	ds_write_b128 v16, v[12:15] offset:240
	;; [unrolled: 1-line block ×3, first 2 shown]
	v_mad_legacy_u16 v12, v163, 25, v164
	v_mul_lo_u16_sdwa v100, v176, v108 dst_sel:DWORD dst_unused:UNUSED_PAD src0_sel:BYTE_0 src1_sel:DWORD
	v_lshlrev_b32_e32 v12, 4, v12
	v_lshrrev_b16_e32 v171, 10, v100
	ds_write_b128 v12, v[68:71]
	ds_write_b128 v12, v[60:63] offset:80
	scratch_store_dword off, v12, off offset:8 ; 4-byte Folded Spill
	ds_write_b128 v12, v[56:59] offset:160
	ds_write_b128 v12, v[8:11] offset:240
	;; [unrolled: 1-line block ×3, first 2 shown]
	v_mad_legacy_u16 v8, v143, 25, v160
	v_mul_lo_u16_e32 v100, 25, v171
	v_add_f64 v[104:105], v[138:139], -v[154:155]
	v_add_f64 v[106:107], v[156:157], -v[148:149]
	v_lshlrev_b32_e32 v230, 4, v8
	v_sub_u16_e32 v100, v176, v100
	v_add_f64 v[104:105], v[104:105], v[106:107]
	ds_write_b128 v230, v[48:51]
	ds_write_b128 v230, v[44:47] offset:80
	ds_write_b128 v230, v[24:27] offset:160
	;; [unrolled: 1-line block ×4, first 2 shown]
	v_mad_legacy_u16 v4, v161, 25, v162
	v_and_b32_e32 v173, 0xff, v100
	v_fmac_f64_e32 v[42:43], s[4:5], v[104:105]
	v_fmac_f64_e32 v[2:3], s[4:5], v[104:105]
	v_lshlrev_b32_e32 v231, 4, v4
	v_lshlrev_b32_e32 v100, 6, v173
	ds_write_b128 v231, v[36:39]
	ds_write_b128 v231, v[32:35] offset:80
	ds_write_b128 v231, v[40:43] offset:160
	;; [unrolled: 1-line block ×4, first 2 shown]
	s_waitcnt lgkmcnt(0)
	s_barrier
	ds_read_b128 v[16:19], v228
	ds_read_b128 v[96:99], v228 offset:10000
	ds_read_b128 v[92:95], v228 offset:20000
	;; [unrolled: 1-line block ×24, first 2 shown]
	global_load_dwordx4 v[110:113], v100, s[6:7] offset:368
	global_load_dwordx4 v[114:117], v100, s[6:7] offset:352
	;; [unrolled: 1-line block ×4, first 2 shown]
	s_waitcnt vmcnt(3)
	v_accvgpr_write_b32 a199, v113
	s_waitcnt vmcnt(2)
	v_accvgpr_write_b32 a195, v117
	;; [unrolled: 2-line block ×3, first 2 shown]
	s_waitcnt vmcnt(0) lgkmcnt(14)
	v_mul_f64 v[100:101], v[98:99], v[106:107]
	v_fma_f64 v[102:103], v[96:97], v[104:105], -v[100:101]
	v_mul_f64 v[100:101], v[96:97], v[106:107]
	v_accvgpr_write_b32 a187, v107
	v_mul_f64 v[96:97], v[94:95], v[120:121]
	v_fmac_f64_e32 v[100:101], v[98:99], v[104:105]
	v_accvgpr_write_b32 a186, v106
	v_accvgpr_write_b32 a185, v105
	;; [unrolled: 1-line block ×3, first 2 shown]
	v_fma_f64 v[104:105], v[92:93], v[118:119], -v[96:97]
	v_mul_f64 v[92:93], v[92:93], v[120:121]
	v_fmac_f64_e32 v[92:93], v[94:95], v[118:119]
	v_mul_f64 v[94:95], v[90:91], v[116:117]
	v_fma_f64 v[106:107], v[88:89], v[114:115], -v[94:95]
	v_mul_f64 v[94:95], v[88:89], v[116:117]
	v_mul_f64 v[88:89], v[86:87], v[112:113]
	v_fmac_f64_e32 v[94:95], v[90:91], v[114:115]
	v_fma_f64 v[90:91], v[84:85], v[110:111], -v[88:89]
	v_mul_f64 v[84:85], v[84:85], v[112:113]
	v_fmac_f64_e32 v[84:85], v[86:87], v[110:111]
	v_mul_lo_u16_sdwa v86, v184, v108 dst_sel:DWORD dst_unused:UNUSED_PAD src0_sel:BYTE_0 src1_sel:DWORD
	v_lshrrev_b16_e32 v169, 10, v86
	v_mul_lo_u16_e32 v86, 25, v169
	v_sub_u16_e32 v86, v184, v86
	v_and_b32_e32 v170, 0xff, v86
	v_lshlrev_b32_e32 v86, 6, v170
	v_accvgpr_write_b32 a182, v120
	v_accvgpr_write_b32 a181, v119
	;; [unrolled: 1-line block ×9, first 2 shown]
	global_load_dwordx4 v[96:99], v86, s[6:7] offset:368
	global_load_dwordx4 v[116:119], v86, s[6:7] offset:352
	;; [unrolled: 1-line block ×4, first 2 shown]
	s_waitcnt vmcnt(3)
	v_accvgpr_write_b32 a215, v99
	s_waitcnt vmcnt(2)
	v_accvgpr_write_b32 a211, v119
	v_accvgpr_write_b32 a210, v118
	s_waitcnt vmcnt(0)
	v_mul_f64 v[86:87], v[82:83], v[122:123]
	v_mul_f64 v[108:109], v[80:81], v[122:123]
	v_accvgpr_write_b32 a203, v123
	v_fma_f64 v[86:87], v[80:81], v[120:121], -v[86:87]
	v_fmac_f64_e32 v[108:109], v[82:83], v[120:121]
	v_accvgpr_write_b32 a202, v122
	v_accvgpr_write_b32 a201, v121
	;; [unrolled: 1-line block ×3, first 2 shown]
	v_mov_b64_e32 v[122:123], v[112:113]
	v_mov_b64_e32 v[120:121], v[110:111]
	v_mul_f64 v[80:81], v[78:79], v[122:123]
	v_fma_f64 v[114:115], v[76:77], v[120:121], -v[80:81]
	v_mul_f64 v[110:111], v[76:77], v[122:123]
	v_mul_f64 v[76:77], v[74:75], v[118:119]
	v_fmac_f64_e32 v[110:111], v[78:79], v[120:121]
	v_accvgpr_write_b32 a207, v123
	v_fma_f64 v[78:79], v[72:73], v[116:117], -v[76:77]
	v_mul_f64 v[112:113], v[72:73], v[118:119]
	v_mul_f64 v[72:73], v[70:71], v[98:99]
	v_accvgpr_write_b32 a206, v122
	v_accvgpr_write_b32 a205, v121
	;; [unrolled: 1-line block ×3, first 2 shown]
	v_fma_f64 v[120:121], v[68:69], v[96:97], -v[72:73]
	v_mul_f64 v[68:69], v[68:69], v[98:99]
	v_fmac_f64_e32 v[68:69], v[70:71], v[96:97]
	v_mul_u32_u24_sdwa v70, v182, s15 dst_sel:DWORD dst_unused:UNUSED_PAD src0_sel:WORD_0 src1_sel:DWORD
	v_sub_u16_sdwa v71, v182, v70 dst_sel:DWORD dst_unused:UNUSED_PAD src0_sel:DWORD src1_sel:WORD_1
	v_lshrrev_b16_e32 v71, 1, v71
	v_add_u16_sdwa v70, v71, v70 dst_sel:DWORD dst_unused:UNUSED_PAD src0_sel:DWORD src1_sel:WORD_1
	v_lshrrev_b16_e32 v167, 4, v70
	v_mul_lo_u16_e32 v70, 25, v167
	v_sub_u16_e32 v168, v182, v70
	v_lshlrev_b16_e32 v70, 6, v168
	v_mov_b32_e32 v71, v229
	v_lshl_add_u64 v[70:71], s[6:7], 0, v[70:71]
	v_fmac_f64_e32 v[112:113], v[74:75], v[116:117]
	v_accvgpr_write_b32 a209, v117
	v_accvgpr_write_b32 a208, v116
	;; [unrolled: 1-line block ×5, first 2 shown]
	global_load_dwordx4 v[72:75], v[70:71], off offset:368
	global_load_dwordx4 v[80:83], v[70:71], off offset:352
	;; [unrolled: 1-line block ×4, first 2 shown]
	s_waitcnt vmcnt(3)
	v_accvgpr_write_b32 a231, v75
	v_accvgpr_write_b32 a230, v74
	s_waitcnt vmcnt(1) lgkmcnt(12)
	v_mul_f64 v[122:123], v[60:61], v[98:99]
	s_waitcnt vmcnt(0)
	v_mul_f64 v[70:71], v[66:67], v[118:119]
	v_mov_b64_e32 v[128:129], v[118:119]
	v_fma_f64 v[124:125], v[64:65], v[116:117], -v[70:71]
	v_mov_b64_e32 v[126:127], v[116:117]
	v_mul_f64 v[116:117], v[64:65], v[128:129]
	v_accvgpr_write_b32 a219, v129
	v_mul_f64 v[64:65], v[62:63], v[98:99]
	v_fmac_f64_e32 v[116:117], v[66:67], v[126:127]
	v_accvgpr_write_b32 a218, v128
	v_accvgpr_write_b32 a217, v127
	;; [unrolled: 1-line block ×3, first 2 shown]
	v_fma_f64 v[126:127], v[60:61], v[96:97], -v[64:65]
	s_waitcnt lgkmcnt(11)
	v_mul_f64 v[60:61], v[58:59], v[82:83]
	v_fma_f64 v[130:131], v[56:57], v[80:81], -v[60:61]
	v_mul_f64 v[128:129], v[56:57], v[82:83]
	s_waitcnt lgkmcnt(10)
	v_mul_f64 v[56:57], v[54:55], v[74:75]
	v_fmac_f64_e32 v[128:129], v[58:59], v[80:81]
	v_fma_f64 v[58:59], v[52:53], v[72:73], -v[56:57]
	v_mul_f64 v[52:53], v[52:53], v[74:75]
	v_fmac_f64_e32 v[52:53], v[54:55], v[72:73]
	v_mul_u32_u24_sdwa v54, v180, s15 dst_sel:DWORD dst_unused:UNUSED_PAD src0_sel:WORD_0 src1_sel:DWORD
	v_sub_u16_sdwa v55, v180, v54 dst_sel:DWORD dst_unused:UNUSED_PAD src0_sel:DWORD src1_sel:WORD_1
	v_lshrrev_b16_e32 v55, 1, v55
	v_add_u16_sdwa v54, v55, v54 dst_sel:DWORD dst_unused:UNUSED_PAD src0_sel:DWORD src1_sel:WORD_1
	v_lshrrev_b16_e32 v165, 4, v54
	v_mul_lo_u16_e32 v54, 25, v165
	v_sub_u16_e32 v166, v180, v54
	v_lshlrev_b16_e32 v54, 6, v166
	v_mov_b32_e32 v55, v229
	v_lshl_add_u64 v[54:55], s[6:7], 0, v[54:55]
	v_fmac_f64_e32 v[122:123], v[62:63], v[96:97]
	v_accvgpr_write_b32 a229, v73
	v_accvgpr_write_b32 a228, v72
	global_load_dwordx4 v[60:63], v[54:55], off offset:368
	global_load_dwordx4 v[64:67], v[54:55], off offset:352
	;; [unrolled: 1-line block ×4, first 2 shown]
	v_accvgpr_write_b32 a223, v99
	v_accvgpr_write_b32 a222, v98
	;; [unrolled: 1-line block ×8, first 2 shown]
	s_waitcnt vmcnt(3)
	v_accvgpr_write_b32 a247, v63
	s_waitcnt vmcnt(2) lgkmcnt(6)
	v_mul_f64 v[154:155], v[40:41], v[66:67]
	s_waitcnt vmcnt(1)
	v_mul_f64 v[134:135], v[44:45], v[72:73]
	s_waitcnt vmcnt(0)
	v_mul_f64 v[54:55], v[50:51], v[76:77]
	v_fma_f64 v[152:153], v[48:49], v[74:75], -v[54:55]
	v_mul_f64 v[132:133], v[48:49], v[76:77]
	v_mul_f64 v[48:49], v[46:47], v[72:73]
	v_fma_f64 v[156:157], v[44:45], v[70:71], -v[48:49]
	v_mul_f64 v[44:45], v[42:43], v[66:67]
	v_fma_f64 v[118:119], v[40:41], v[64:65], -v[44:45]
	s_waitcnt lgkmcnt(5)
	v_mul_f64 v[40:41], v[38:39], v[62:63]
	v_fmac_f64_e32 v[154:155], v[42:43], v[64:65]
	v_fma_f64 v[42:43], v[36:37], v[60:61], -v[40:41]
	v_mul_f64 v[36:37], v[36:37], v[62:63]
	v_fmac_f64_e32 v[36:37], v[38:39], v[60:61]
	v_mul_u32_u24_sdwa v38, v172, s15 dst_sel:DWORD dst_unused:UNUSED_PAD src0_sel:WORD_0 src1_sel:DWORD
	v_sub_u16_sdwa v39, v172, v38 dst_sel:DWORD dst_unused:UNUSED_PAD src0_sel:DWORD src1_sel:WORD_1
	v_lshrrev_b16_e32 v39, 1, v39
	v_add_u16_sdwa v38, v39, v38 dst_sel:DWORD dst_unused:UNUSED_PAD src0_sel:DWORD src1_sel:WORD_1
	v_lshrrev_b16_e32 v143, 4, v38
	v_mul_lo_u16_e32 v38, 25, v143
	v_sub_u16_e32 v164, v172, v38
	v_lshlrev_b16_e32 v38, 6, v164
	v_mov_b32_e32 v39, v229
	v_lshl_add_u64 v[38:39], s[6:7], 0, v[38:39]
	v_fmac_f64_e32 v[132:133], v[50:51], v[74:75]
	v_fmac_f64_e32 v[134:135], v[46:47], v[70:71]
	global_load_dwordx4 v[44:47], v[38:39], off offset:368
	global_load_dwordx4 v[48:51], v[38:39], off offset:352
	;; [unrolled: 1-line block ×4, first 2 shown]
	v_accvgpr_write_b32 a239, v73
	v_accvgpr_write_b32 a238, v72
	;; [unrolled: 1-line block ×15, first 2 shown]
	s_waitcnt lgkmcnt(0)
	s_barrier
	s_waitcnt vmcnt(3)
	v_mul_f64 v[148:149], v[20:21], v[46:47]
	s_waitcnt vmcnt(2)
	v_mul_f64 v[160:161], v[24:25], v[50:51]
	s_waitcnt vmcnt(1)
	v_mul_f64 v[138:139], v[28:29], v[56:57]
	s_waitcnt vmcnt(0)
	v_mul_f64 v[38:39], v[34:35], v[146:147]
	v_fma_f64 v[140:141], v[32:33], v[144:145], -v[38:39]
	v_mul_f64 v[158:159], v[32:33], v[146:147]
	v_mul_f64 v[32:33], v[30:31], v[56:57]
	v_fma_f64 v[162:163], v[28:29], v[54:55], -v[32:33]
	v_mul_f64 v[28:29], v[26:27], v[50:51]
	v_fma_f64 v[150:151], v[24:25], v[48:49], -v[28:29]
	v_mul_f64 v[24:25], v[22:23], v[46:47]
	v_fmac_f64_e32 v[160:161], v[26:27], v[48:49]
	v_fma_f64 v[26:27], v[20:21], v[44:45], -v[24:25]
	v_add_f64 v[20:21], v[16:17], v[102:103]
	v_add_f64 v[20:21], v[20:21], v[104:105]
	;; [unrolled: 1-line block ×5, first 2 shown]
	v_fma_f64 v[72:73], -0.5, v[20:21], v[16:17]
	v_add_f64 v[20:21], v[100:101], -v[84:85]
	v_fmac_f64_e32 v[148:149], v[22:23], v[44:45]
	v_fma_f64 v[88:89], s[2:3], v[20:21], v[72:73]
	v_add_f64 v[22:23], v[92:93], -v[94:95]
	v_add_f64 v[24:25], v[102:103], -v[104:105]
	v_add_f64 v[28:29], v[90:91], -v[106:107]
	v_fmac_f64_e32 v[72:73], s[12:13], v[20:21]
	v_fmac_f64_e32 v[88:89], s[8:9], v[22:23]
	v_add_f64 v[24:25], v[24:25], v[28:29]
	v_fmac_f64_e32 v[72:73], s[10:11], v[22:23]
	v_fmac_f64_e32 v[88:89], s[4:5], v[24:25]
	v_fmac_f64_e32 v[72:73], s[4:5], v[24:25]
	v_add_f64 v[24:25], v[102:103], v[90:91]
	v_fmac_f64_e32 v[16:17], -0.5, v[24:25]
	v_fma_f64 v[80:81], s[12:13], v[22:23], v[16:17]
	v_fmac_f64_e32 v[16:17], s[2:3], v[22:23]
	v_fmac_f64_e32 v[80:81], s[8:9], v[20:21]
	v_fmac_f64_e32 v[16:17], s[10:11], v[20:21]
	v_add_f64 v[20:21], v[18:19], v[100:101]
	v_add_f64 v[20:21], v[20:21], v[92:93]
	v_add_f64 v[20:21], v[20:21], v[94:95]
	v_add_f64 v[24:25], v[104:105], -v[102:103]
	v_add_f64 v[28:29], v[106:107], -v[90:91]
	v_add_f64 v[98:99], v[20:21], v[84:85]
	v_add_f64 v[20:21], v[92:93], v[94:95]
	v_add_f64 v[24:25], v[24:25], v[28:29]
	v_fma_f64 v[74:75], -0.5, v[20:21], v[18:19]
	v_add_f64 v[20:21], v[102:103], -v[90:91]
	v_fmac_f64_e32 v[80:81], s[4:5], v[24:25]
	v_fmac_f64_e32 v[16:17], s[4:5], v[24:25]
	v_fma_f64 v[90:91], s[12:13], v[20:21], v[74:75]
	v_add_f64 v[22:23], v[104:105], -v[106:107]
	v_add_f64 v[24:25], v[100:101], -v[92:93]
	v_add_f64 v[28:29], v[84:85], -v[94:95]
	v_fmac_f64_e32 v[74:75], s[2:3], v[20:21]
	v_fmac_f64_e32 v[90:91], s[10:11], v[22:23]
	v_add_f64 v[24:25], v[24:25], v[28:29]
	v_fmac_f64_e32 v[74:75], s[8:9], v[22:23]
	v_fmac_f64_e32 v[90:91], s[4:5], v[24:25]
	v_fmac_f64_e32 v[74:75], s[4:5], v[24:25]
	v_add_f64 v[24:25], v[100:101], v[84:85]
	v_fmac_f64_e32 v[18:19], -0.5, v[24:25]
	v_fma_f64 v[82:83], s[2:3], v[22:23], v[18:19]
	v_fmac_f64_e32 v[18:19], s[12:13], v[22:23]
	v_fmac_f64_e32 v[82:83], s[10:11], v[20:21]
	v_fmac_f64_e32 v[18:19], s[8:9], v[20:21]
	v_add_f64 v[20:21], v[12:13], v[86:87]
	v_add_f64 v[20:21], v[20:21], v[114:115]
	v_add_f64 v[20:21], v[20:21], v[78:79]
	v_add_f64 v[24:25], v[92:93], -v[100:101]
	v_add_f64 v[28:29], v[94:95], -v[84:85]
	v_add_f64 v[92:93], v[20:21], v[120:121]
	v_add_f64 v[20:21], v[114:115], v[78:79]
	v_add_f64 v[24:25], v[24:25], v[28:29]
	v_fma_f64 v[64:65], -0.5, v[20:21], v[12:13]
	v_add_f64 v[20:21], v[108:109], -v[68:69]
	v_fmac_f64_e32 v[82:83], s[4:5], v[24:25]
	;; [unrolled: 28-line block ×3, first 2 shown]
	v_fmac_f64_e32 v[12:13], s[4:5], v[24:25]
	v_fma_f64 v[86:87], s[12:13], v[20:21], v[66:67]
	v_add_f64 v[22:23], v[114:115], -v[78:79]
	v_add_f64 v[24:25], v[108:109], -v[110:111]
	;; [unrolled: 1-line block ×3, first 2 shown]
	v_fmac_f64_e32 v[66:67], s[2:3], v[20:21]
	v_fmac_f64_e32 v[86:87], s[10:11], v[22:23]
	v_add_f64 v[24:25], v[24:25], v[28:29]
	v_fmac_f64_e32 v[66:67], s[8:9], v[22:23]
	v_fmac_f64_e32 v[86:87], s[4:5], v[24:25]
	v_fmac_f64_e32 v[66:67], s[4:5], v[24:25]
	v_add_f64 v[24:25], v[108:109], v[68:69]
	v_fmac_f64_e32 v[14:15], -0.5, v[24:25]
	v_fma_f64 v[78:79], s[2:3], v[22:23], v[14:15]
	v_fmac_f64_e32 v[14:15], s[12:13], v[22:23]
	v_fmac_f64_e32 v[78:79], s[10:11], v[20:21]
	;; [unrolled: 1-line block ×3, first 2 shown]
	v_add_f64 v[20:21], v[8:9], v[124:125]
	v_add_f64 v[20:21], v[20:21], v[126:127]
	;; [unrolled: 1-line block ×3, first 2 shown]
	v_accvgpr_write_b32 a255, v51
	v_add_f64 v[24:25], v[110:111], -v[108:109]
	v_add_f64 v[28:29], v[112:113], -v[68:69]
	v_add_f64 v[68:69], v[20:21], v[58:59]
	v_add_f64 v[20:21], v[126:127], v[130:131]
	v_accvgpr_write_b32 a254, v50
	v_accvgpr_write_b32 a253, v49
	;; [unrolled: 1-line block ×3, first 2 shown]
	v_add_f64 v[24:25], v[24:25], v[28:29]
	v_fma_f64 v[48:49], -0.5, v[20:21], v[8:9]
	v_add_f64 v[20:21], v[116:117], -v[52:53]
	v_fmac_f64_e32 v[78:79], s[4:5], v[24:25]
	v_fmac_f64_e32 v[14:15], s[4:5], v[24:25]
	v_fma_f64 v[60:61], s[2:3], v[20:21], v[48:49]
	v_add_f64 v[22:23], v[122:123], -v[128:129]
	v_add_f64 v[24:25], v[124:125], -v[126:127]
	;; [unrolled: 1-line block ×3, first 2 shown]
	v_fmac_f64_e32 v[48:49], s[12:13], v[20:21]
	v_fmac_f64_e32 v[60:61], s[8:9], v[22:23]
	v_add_f64 v[24:25], v[24:25], v[28:29]
	v_fmac_f64_e32 v[48:49], s[10:11], v[22:23]
	v_fmac_f64_e32 v[60:61], s[4:5], v[24:25]
	;; [unrolled: 1-line block ×3, first 2 shown]
	v_add_f64 v[24:25], v[124:125], v[58:59]
	v_accvgpr_write_b32 a251, v57
	v_fmac_f64_e32 v[8:9], -0.5, v[24:25]
	v_accvgpr_write_b32 a250, v56
	v_accvgpr_write_b32 a249, v55
	;; [unrolled: 1-line block ×3, first 2 shown]
	v_fma_f64 v[56:57], s[12:13], v[22:23], v[8:9]
	v_fmac_f64_e32 v[8:9], s[2:3], v[22:23]
	v_fmac_f64_e32 v[56:57], s[8:9], v[20:21]
	;; [unrolled: 1-line block ×3, first 2 shown]
	v_add_f64 v[20:21], v[10:11], v[116:117]
	v_add_f64 v[20:21], v[20:21], v[122:123]
	;; [unrolled: 1-line block ×3, first 2 shown]
	v_add_f64 v[24:25], v[126:127], -v[124:125]
	v_add_f64 v[28:29], v[130:131], -v[58:59]
	v_add_f64 v[70:71], v[20:21], v[52:53]
	v_add_f64 v[20:21], v[122:123], v[128:129]
	;; [unrolled: 1-line block ×3, first 2 shown]
	v_fma_f64 v[50:51], -0.5, v[20:21], v[10:11]
	v_add_f64 v[20:21], v[124:125], -v[58:59]
	v_fmac_f64_e32 v[56:57], s[4:5], v[24:25]
	v_fmac_f64_e32 v[8:9], s[4:5], v[24:25]
	v_fma_f64 v[62:63], s[12:13], v[20:21], v[50:51]
	v_add_f64 v[22:23], v[126:127], -v[130:131]
	v_add_f64 v[24:25], v[116:117], -v[122:123]
	;; [unrolled: 1-line block ×3, first 2 shown]
	v_fmac_f64_e32 v[50:51], s[2:3], v[20:21]
	v_fmac_f64_e32 v[62:63], s[10:11], v[22:23]
	v_add_f64 v[24:25], v[24:25], v[28:29]
	v_fmac_f64_e32 v[50:51], s[8:9], v[22:23]
	v_fmac_f64_e32 v[62:63], s[4:5], v[24:25]
	;; [unrolled: 1-line block ×3, first 2 shown]
	v_add_f64 v[24:25], v[116:117], v[52:53]
	v_fmac_f64_e32 v[10:11], -0.5, v[24:25]
	v_fma_f64 v[58:59], s[2:3], v[22:23], v[10:11]
	v_fmac_f64_e32 v[10:11], s[12:13], v[22:23]
	v_fmac_f64_e32 v[58:59], s[10:11], v[20:21]
	;; [unrolled: 1-line block ×3, first 2 shown]
	v_add_f64 v[20:21], v[4:5], v[152:153]
	v_add_f64 v[20:21], v[20:21], v[156:157]
	;; [unrolled: 1-line block ×3, first 2 shown]
	v_add_f64 v[24:25], v[122:123], -v[116:117]
	v_add_f64 v[28:29], v[128:129], -v[52:53]
	v_add_f64 v[52:53], v[20:21], v[42:43]
	v_add_f64 v[20:21], v[156:157], v[118:119]
	v_accvgpr_write_b32 a63, v47
	v_add_f64 v[24:25], v[24:25], v[28:29]
	v_fma_f64 v[32:33], -0.5, v[20:21], v[4:5]
	v_add_f64 v[20:21], v[132:133], -v[36:37]
	v_accvgpr_write_b32 a62, v46
	v_accvgpr_write_b32 a61, v45
	;; [unrolled: 1-line block ×3, first 2 shown]
	v_fmac_f64_e32 v[58:59], s[4:5], v[24:25]
	v_fmac_f64_e32 v[10:11], s[4:5], v[24:25]
	v_fma_f64 v[44:45], s[2:3], v[20:21], v[32:33]
	v_add_f64 v[22:23], v[134:135], -v[154:155]
	v_add_f64 v[24:25], v[152:153], -v[156:157]
	;; [unrolled: 1-line block ×3, first 2 shown]
	v_fmac_f64_e32 v[32:33], s[12:13], v[20:21]
	v_fmac_f64_e32 v[44:45], s[8:9], v[22:23]
	v_add_f64 v[24:25], v[24:25], v[28:29]
	v_fmac_f64_e32 v[32:33], s[10:11], v[22:23]
	v_fmac_f64_e32 v[44:45], s[4:5], v[24:25]
	;; [unrolled: 1-line block ×3, first 2 shown]
	v_add_f64 v[24:25], v[152:153], v[42:43]
	v_fmac_f64_e32 v[4:5], -0.5, v[24:25]
	v_fma_f64 v[40:41], s[12:13], v[22:23], v[4:5]
	v_fmac_f64_e32 v[4:5], s[2:3], v[22:23]
	v_fmac_f64_e32 v[40:41], s[8:9], v[20:21]
	;; [unrolled: 1-line block ×3, first 2 shown]
	v_add_f64 v[20:21], v[6:7], v[132:133]
	v_add_f64 v[20:21], v[20:21], v[134:135]
	;; [unrolled: 1-line block ×3, first 2 shown]
	v_fmac_f64_e32 v[138:139], v[30:31], v[54:55]
	v_add_f64 v[24:25], v[156:157], -v[152:153]
	v_add_f64 v[28:29], v[118:119], -v[42:43]
	v_add_f64 v[54:55], v[20:21], v[36:37]
	v_add_f64 v[20:21], v[134:135], v[154:155]
	v_fmac_f64_e32 v[158:159], v[34:35], v[144:145]
	v_add_f64 v[24:25], v[24:25], v[28:29]
	v_fma_f64 v[34:35], -0.5, v[20:21], v[6:7]
	v_add_f64 v[20:21], v[152:153], -v[42:43]
	v_fmac_f64_e32 v[40:41], s[4:5], v[24:25]
	v_fmac_f64_e32 v[4:5], s[4:5], v[24:25]
	v_fma_f64 v[46:47], s[12:13], v[20:21], v[34:35]
	v_add_f64 v[22:23], v[156:157], -v[118:119]
	v_add_f64 v[24:25], v[132:133], -v[134:135]
	;; [unrolled: 1-line block ×3, first 2 shown]
	v_fmac_f64_e32 v[34:35], s[2:3], v[20:21]
	v_fmac_f64_e32 v[46:47], s[10:11], v[22:23]
	v_add_f64 v[24:25], v[24:25], v[28:29]
	v_fmac_f64_e32 v[34:35], s[8:9], v[22:23]
	v_fmac_f64_e32 v[46:47], s[4:5], v[24:25]
	;; [unrolled: 1-line block ×3, first 2 shown]
	v_add_f64 v[24:25], v[132:133], v[36:37]
	v_fmac_f64_e32 v[6:7], -0.5, v[24:25]
	v_fma_f64 v[42:43], s[2:3], v[22:23], v[6:7]
	v_fmac_f64_e32 v[6:7], s[12:13], v[22:23]
	v_fmac_f64_e32 v[42:43], s[10:11], v[20:21]
	;; [unrolled: 1-line block ×3, first 2 shown]
	v_add_f64 v[20:21], v[0:1], v[140:141]
	v_add_f64 v[20:21], v[20:21], v[162:163]
	;; [unrolled: 1-line block ×3, first 2 shown]
	v_add_f64 v[24:25], v[134:135], -v[132:133]
	v_add_f64 v[28:29], v[154:155], -v[36:37]
	v_add_f64 v[36:37], v[20:21], v[26:27]
	v_add_f64 v[20:21], v[162:163], v[150:151]
	;; [unrolled: 1-line block ×3, first 2 shown]
	v_fma_f64 v[20:21], -0.5, v[20:21], v[0:1]
	v_add_f64 v[22:23], v[158:159], -v[148:149]
	v_fmac_f64_e32 v[42:43], s[4:5], v[24:25]
	v_fmac_f64_e32 v[6:7], s[4:5], v[24:25]
	v_fma_f64 v[28:29], s[2:3], v[22:23], v[20:21]
	v_add_f64 v[30:31], v[138:139], -v[160:161]
	v_add_f64 v[24:25], v[140:141], -v[162:163]
	;; [unrolled: 1-line block ×3, first 2 shown]
	v_fmac_f64_e32 v[20:21], s[12:13], v[22:23]
	v_fmac_f64_e32 v[28:29], s[8:9], v[30:31]
	v_add_f64 v[24:25], v[24:25], v[38:39]
	v_fmac_f64_e32 v[20:21], s[10:11], v[30:31]
	v_fmac_f64_e32 v[28:29], s[4:5], v[24:25]
	v_fmac_f64_e32 v[20:21], s[4:5], v[24:25]
	v_add_f64 v[24:25], v[140:141], v[26:27]
	v_fmac_f64_e32 v[0:1], -0.5, v[24:25]
	v_fma_f64 v[24:25], s[12:13], v[30:31], v[0:1]
	v_fmac_f64_e32 v[0:1], s[2:3], v[30:31]
	v_fmac_f64_e32 v[24:25], s[8:9], v[22:23]
	;; [unrolled: 1-line block ×3, first 2 shown]
	v_add_f64 v[22:23], v[2:3], v[158:159]
	v_add_f64 v[38:39], v[162:163], -v[140:141]
	v_add_f64 v[100:101], v[150:151], -v[26:27]
	v_add_f64 v[22:23], v[22:23], v[138:139]
	v_add_f64 v[38:39], v[38:39], v[100:101]
	v_add_f64 v[22:23], v[22:23], v[160:161]
	v_fmac_f64_e32 v[24:25], s[4:5], v[38:39]
	v_fmac_f64_e32 v[0:1], s[4:5], v[38:39]
	v_add_f64 v[38:39], v[22:23], v[148:149]
	v_add_f64 v[22:23], v[138:139], v[160:161]
	v_fma_f64 v[22:23], -0.5, v[22:23], v[2:3]
	v_add_f64 v[100:101], v[140:141], -v[26:27]
	v_fma_f64 v[30:31], s[12:13], v[100:101], v[22:23]
	v_add_f64 v[102:103], v[162:163], -v[150:151]
	v_add_f64 v[26:27], v[158:159], -v[138:139]
	;; [unrolled: 1-line block ×3, first 2 shown]
	v_fmac_f64_e32 v[22:23], s[2:3], v[100:101]
	v_fmac_f64_e32 v[30:31], s[10:11], v[102:103]
	v_add_f64 v[26:27], v[26:27], v[104:105]
	v_fmac_f64_e32 v[22:23], s[8:9], v[102:103]
	v_fmac_f64_e32 v[30:31], s[4:5], v[26:27]
	;; [unrolled: 1-line block ×3, first 2 shown]
	v_add_f64 v[26:27], v[158:159], v[148:149]
	v_fmac_f64_e32 v[2:3], -0.5, v[26:27]
	v_fma_f64 v[26:27], s[2:3], v[102:103], v[2:3]
	v_fmac_f64_e32 v[2:3], s[12:13], v[102:103]
	v_fmac_f64_e32 v[26:27], s[10:11], v[100:101]
	;; [unrolled: 1-line block ×3, first 2 shown]
	v_mul_u32_u24_e32 v100, 0x7d, v171
	v_add_lshl_u32 v100, v100, v173, 4
	ds_write_b128 v100, v[96:99]
	ds_write_b128 v100, v[88:91] offset:400
	scratch_store_dword off, v100, off offset:140 ; 4-byte Folded Spill
	ds_write_b128 v100, v[80:83] offset:800
	ds_write_b128 v100, v[16:19] offset:1200
	;; [unrolled: 1-line block ×3, first 2 shown]
	v_mul_u32_u24_e32 v16, 0x7d, v169
	v_add_lshl_u32 v16, v16, v170, 4
	ds_write_b128 v16, v[92:95]
	ds_write_b128 v16, v[84:87] offset:400
	scratch_store_dword off, v16, off offset:144 ; 4-byte Folded Spill
	ds_write_b128 v16, v[76:79] offset:800
	ds_write_b128 v16, v[12:15] offset:1200
	;; [unrolled: 1-line block ×3, first 2 shown]
	v_mad_legacy_u16 v12, v167, s14, v168
	v_lshlrev_b32_e32 v12, 4, v12
	ds_write_b128 v12, v[68:71]
	ds_write_b128 v12, v[60:63] offset:400
	scratch_store_dword off, v12, off offset:148 ; 4-byte Folded Spill
	ds_write_b128 v12, v[56:59] offset:800
	ds_write_b128 v12, v[8:11] offset:1200
	;; [unrolled: 1-line block ×3, first 2 shown]
	v_mad_legacy_u16 v8, v165, s14, v166
	v_add_f64 v[104:105], v[138:139], -v[158:159]
	v_add_f64 v[106:107], v[160:161], -v[148:149]
	v_lshlrev_b32_e32 v227, 4, v8
	v_add_f64 v[104:105], v[104:105], v[106:107]
	ds_write_b128 v227, v[52:55]
	ds_write_b128 v227, v[44:47] offset:400
	ds_write_b128 v227, v[40:43] offset:800
	ds_write_b128 v227, v[4:7] offset:1200
	ds_write_b128 v227, v[32:35] offset:1600
	v_mad_legacy_u16 v4, v143, s14, v164
	v_fmac_f64_e32 v[26:27], s[4:5], v[104:105]
	v_fmac_f64_e32 v[2:3], s[4:5], v[104:105]
	v_lshlrev_b32_e32 v226, 4, v4
	v_lshlrev_b32_e32 v100, 6, v176
	ds_write_b128 v226, v[36:39]
	ds_write_b128 v226, v[28:31] offset:400
	ds_write_b128 v226, v[24:27] offset:800
	ds_write_b128 v226, v[0:3] offset:1200
	ds_write_b128 v226, v[20:23] offset:1600
	s_waitcnt lgkmcnt(0)
	s_barrier
	ds_read_b128 v[16:19], v228
	ds_read_b128 v[96:99], v228 offset:10000
	ds_read_b128 v[92:95], v228 offset:20000
	;; [unrolled: 1-line block ×24, first 2 shown]
	global_load_dwordx4 v[244:247], v100, s[6:7] offset:1968
	global_load_dwordx4 v[252:255], v100, s[6:7] offset:1952
	;; [unrolled: 1-line block ×4, first 2 shown]
	v_mov_b32_e32 v101, v229
	v_lshl_add_u64 v[104:105], s[6:7], 0, v[100:101]
	s_movk_i32 s14, 0x625
	s_waitcnt vmcnt(3) lgkmcnt(14)
	v_mul_f64 v[158:159], v[84:85], v[246:247]
	s_waitcnt vmcnt(2)
	v_mul_f64 v[152:153], v[88:89], v[254:255]
	s_waitcnt vmcnt(1)
	;; [unrolled: 2-line block ×3, first 2 shown]
	v_mul_f64 v[100:101], v[98:99], v[140:141]
	v_fma_f64 v[108:109], v[96:97], v[138:139], -v[100:101]
	v_mul_f64 v[100:101], v[96:97], v[140:141]
	v_mul_f64 v[96:97], v[94:95], v[150:151]
	v_fma_f64 v[116:117], v[92:93], v[148:149], -v[96:97]
	v_mul_f64 v[92:93], v[90:91], v[254:255]
	v_fma_f64 v[156:157], v[88:89], v[252:253], -v[92:93]
	v_mul_f64 v[88:89], v[86:87], v[246:247]
	v_fmac_f64_e32 v[152:153], v[90:91], v[252:253]
	v_fma_f64 v[90:91], v[84:85], v[244:245], -v[88:89]
	v_mul_f64 v[84:85], v[82:83], v[140:141]
	v_fmac_f64_e32 v[100:101], v[98:99], v[138:139]
	v_fma_f64 v[98:99], v[80:81], v[138:139], -v[84:85]
	v_mul_f64 v[96:97], v[80:81], v[140:141]
	v_mul_f64 v[80:81], v[78:79], v[150:151]
	v_fma_f64 v[106:107], v[76:77], v[148:149], -v[80:81]
	v_mul_f64 v[76:77], v[76:77], v[150:151]
	v_fmac_f64_e32 v[76:77], v[78:79], v[148:149]
	v_mul_f64 v[78:79], v[74:75], v[254:255]
	v_fma_f64 v[112:113], v[72:73], v[252:253], -v[78:79]
	v_mul_f64 v[78:79], v[72:73], v[254:255]
	v_mul_f64 v[72:73], v[70:71], v[246:247]
	v_fmac_f64_e32 v[78:79], v[74:75], v[252:253]
	v_fma_f64 v[74:75], v[68:69], v[244:245], -v[72:73]
	v_mul_f64 v[110:111], v[68:69], v[246:247]
	v_mul_u32_u24_sdwa v68, v182, s14 dst_sel:DWORD dst_unused:UNUSED_PAD src0_sel:WORD_0 src1_sel:DWORD
	v_sub_u16_sdwa v69, v182, v68 dst_sel:DWORD dst_unused:UNUSED_PAD src0_sel:DWORD src1_sel:WORD_1
	v_lshrrev_b16_e32 v69, 1, v69
	v_add_u16_sdwa v68, v69, v68 dst_sel:DWORD dst_unused:UNUSED_PAD src0_sel:DWORD src1_sel:WORD_1
	v_lshrrev_b16_e32 v68, 6, v68
	v_mul_lo_u16_e32 v68, 0x7d, v68
	v_sub_u16_e32 v177, v182, v68
	v_lshlrev_b16_e32 v68, 6, v177
	v_mov_b32_e32 v69, v229
	v_lshl_add_u64 v[68:69], s[6:7], 0, v[68:69]
	v_fmac_f64_e32 v[102:103], v[94:95], v[148:149]
	v_fmac_f64_e32 v[158:159], v[86:87], v[244:245]
	v_fmac_f64_e32 v[96:97], v[82:83], v[138:139]
	v_fmac_f64_e32 v[110:111], v[70:71], v[244:245]
	global_load_dwordx4 v[70:73], v[68:69], off offset:1968
	global_load_dwordx4 v[80:83], v[68:69], off offset:1952
	;; [unrolled: 1-line block ×4, first 2 shown]
	s_waitcnt vmcnt(3)
	v_accvgpr_write_b32 a44, v70
	s_waitcnt vmcnt(2) lgkmcnt(11)
	v_mul_f64 v[162:163], v[56:57], v[82:83]
	s_waitcnt vmcnt(1)
	v_mul_f64 v[154:155], v[60:61], v[86:87]
	s_waitcnt vmcnt(0)
	v_mul_f64 v[68:69], v[66:67], v[94:95]
	v_fma_f64 v[160:161], v[64:65], v[92:93], -v[68:69]
	v_mul_f64 v[114:115], v[64:65], v[94:95]
	v_mul_f64 v[64:65], v[62:63], v[86:87]
	v_fmac_f64_e32 v[114:115], v[66:67], v[92:93]
	v_fma_f64 v[66:67], v[60:61], v[84:85], -v[64:65]
	v_mul_f64 v[60:61], v[58:59], v[82:83]
	v_fma_f64 v[164:165], v[56:57], v[80:81], -v[60:61]
	s_waitcnt lgkmcnt(10)
	v_mul_f64 v[56:57], v[54:55], v[72:73]
	v_fmac_f64_e32 v[162:163], v[58:59], v[80:81]
	v_fma_f64 v[58:59], v[52:53], v[70:71], -v[56:57]
	v_mul_f64 v[52:53], v[52:53], v[72:73]
	v_fmac_f64_e32 v[52:53], v[54:55], v[70:71]
	v_mul_u32_u24_sdwa v54, v180, s14 dst_sel:DWORD dst_unused:UNUSED_PAD src0_sel:WORD_0 src1_sel:DWORD
	v_sub_u16_sdwa v55, v180, v54 dst_sel:DWORD dst_unused:UNUSED_PAD src0_sel:DWORD src1_sel:WORD_1
	v_lshrrev_b16_e32 v55, 1, v55
	v_add_u16_sdwa v54, v55, v54 dst_sel:DWORD dst_unused:UNUSED_PAD src0_sel:DWORD src1_sel:WORD_1
	v_lshrrev_b16_e32 v54, 6, v54
	v_mul_lo_u16_e32 v54, 0x7d, v54
	v_sub_u16_e32 v173, v180, v54
	v_lshlrev_b16_e32 v54, 6, v173
	v_mov_b32_e32 v55, v229
	v_accvgpr_write_b32 a52, v84
	v_accvgpr_write_b32 a48, v80
	v_lshl_add_u64 v[54:55], s[6:7], 0, v[54:55]
	v_fmac_f64_e32 v[154:155], v[62:63], v[84:85]
	v_accvgpr_write_b32 a53, v85
	v_accvgpr_write_b32 a54, v86
	;; [unrolled: 1-line block ×9, first 2 shown]
	global_load_dwordx4 v[60:63], v[54:55], off offset:1968
	global_load_dwordx4 v[68:71], v[54:55], off offset:1952
	;; [unrolled: 1-line block ×4, first 2 shown]
	v_accvgpr_write_b32 a56, v92
	v_accvgpr_write_b32 a57, v93
	;; [unrolled: 1-line block ×4, first 2 shown]
	s_waitcnt vmcnt(3) lgkmcnt(5)
	v_mul_f64 v[170:171], v[36:37], v[62:63]
	s_waitcnt vmcnt(2)
	v_mul_f64 v[120:121], v[40:41], v[70:71]
	s_waitcnt vmcnt(1)
	;; [unrolled: 2-line block ×3, first 2 shown]
	v_mul_f64 v[54:55], v[50:51], v[86:87]
	v_fma_f64 v[54:55], v[48:49], v[84:85], -v[54:55]
	v_mul_f64 v[166:167], v[48:49], v[86:87]
	v_mul_f64 v[48:49], v[46:47], v[82:83]
	v_fma_f64 v[122:123], v[44:45], v[80:81], -v[48:49]
	v_mul_f64 v[44:45], v[42:43], v[70:71]
	v_fma_f64 v[118:119], v[40:41], v[68:69], -v[44:45]
	;; [unrolled: 2-line block ×3, first 2 shown]
	v_mul_u32_u24_sdwa v36, v172, s14 dst_sel:DWORD dst_unused:UNUSED_PAD src0_sel:WORD_0 src1_sel:DWORD
	v_sub_u16_sdwa v37, v172, v36 dst_sel:DWORD dst_unused:UNUSED_PAD src0_sel:DWORD src1_sel:WORD_1
	v_lshrrev_b16_e32 v37, 1, v37
	v_add_u16_sdwa v36, v37, v36 dst_sel:DWORD dst_unused:UNUSED_PAD src0_sel:DWORD src1_sel:WORD_1
	v_lshrrev_b16_e32 v36, 6, v36
	v_mul_lo_u16_e32 v36, 0x7d, v36
	v_sub_u16_e32 v143, v172, v36
	v_lshlrev_b16_e32 v36, 6, v143
	v_mov_b32_e32 v37, v229
	v_accvgpr_write_b32 a28, v60
	v_lshl_add_u64 v[36:37], s[6:7], 0, v[36:37]
	v_fmac_f64_e32 v[168:169], v[46:47], v[80:81]
	v_fmac_f64_e32 v[120:121], v[42:43], v[68:69]
	;; [unrolled: 1-line block ×3, first 2 shown]
	v_accvgpr_write_b32 a29, v61
	v_accvgpr_write_b32 a30, v62
	;; [unrolled: 1-line block ×3, first 2 shown]
	global_load_dwordx4 v[38:41], v[36:37], off offset:1968
	global_load_dwordx4 v[42:45], v[36:37], off offset:1952
	;; [unrolled: 1-line block ×4, first 2 shown]
	v_accvgpr_write_b32 a32, v68
	v_accvgpr_write_b32 a40, v84
	;; [unrolled: 1-line block ×5, first 2 shown]
	v_fmac_f64_e32 v[166:167], v[50:51], v[84:85]
	v_accvgpr_write_b32 a41, v85
	v_accvgpr_write_b32 a42, v86
	v_accvgpr_write_b32 a43, v87
	v_accvgpr_write_b32 a36, v80
	v_accvgpr_write_b32 a37, v81
	v_accvgpr_write_b32 a38, v82
	v_accvgpr_write_b32 a39, v83
	s_waitcnt lgkmcnt(0)
	s_barrier
	v_lshlrev_b32_e32 v143, 4, v143
	s_mov_b64 s[14:15], 0x26c0
	s_waitcnt vmcnt(3)
	v_mul_f64 v[128:129], v[20:21], v[40:41]
	s_waitcnt vmcnt(2)
	v_mul_f64 v[174:175], v[24:25], v[44:45]
	;; [unrolled: 2-line block ×4, first 2 shown]
	v_fma_f64 v[132:133], v[32:33], v[60:61], -v[36:37]
	v_mul_f64 v[124:125], v[32:33], v[62:63]
	v_mul_f64 v[32:33], v[30:31], v[48:49]
	v_fma_f64 v[178:179], v[28:29], v[46:47], -v[32:33]
	v_mul_f64 v[28:29], v[26:27], v[44:45]
	v_fma_f64 v[130:131], v[24:25], v[42:43], -v[28:29]
	v_mul_f64 v[24:25], v[22:23], v[40:41]
	v_fmac_f64_e32 v[174:175], v[26:27], v[42:43]
	v_fma_f64 v[26:27], v[20:21], v[38:39], -v[24:25]
	v_add_f64 v[20:21], v[16:17], v[108:109]
	v_add_f64 v[20:21], v[20:21], v[116:117]
	;; [unrolled: 1-line block ×5, first 2 shown]
	v_fma_f64 v[68:69], -0.5, v[20:21], v[16:17]
	v_add_f64 v[20:21], v[100:101], -v[158:159]
	v_fmac_f64_e32 v[128:129], v[22:23], v[38:39]
	v_fma_f64 v[84:85], s[2:3], v[20:21], v[68:69]
	v_add_f64 v[22:23], v[102:103], -v[152:153]
	v_add_f64 v[24:25], v[108:109], -v[116:117]
	;; [unrolled: 1-line block ×3, first 2 shown]
	v_fmac_f64_e32 v[68:69], s[12:13], v[20:21]
	v_fmac_f64_e32 v[84:85], s[8:9], v[22:23]
	v_add_f64 v[24:25], v[24:25], v[28:29]
	v_fmac_f64_e32 v[68:69], s[10:11], v[22:23]
	v_fmac_f64_e32 v[84:85], s[4:5], v[24:25]
	;; [unrolled: 1-line block ×3, first 2 shown]
	v_add_f64 v[24:25], v[108:109], v[90:91]
	v_fmac_f64_e32 v[16:17], -0.5, v[24:25]
	v_fma_f64 v[88:89], s[12:13], v[22:23], v[16:17]
	v_fmac_f64_e32 v[16:17], s[2:3], v[22:23]
	v_fmac_f64_e32 v[88:89], s[8:9], v[20:21]
	;; [unrolled: 1-line block ×3, first 2 shown]
	v_add_f64 v[20:21], v[18:19], v[100:101]
	v_add_f64 v[20:21], v[20:21], v[102:103]
	;; [unrolled: 1-line block ×3, first 2 shown]
	v_add_f64 v[24:25], v[116:117], -v[108:109]
	v_add_f64 v[28:29], v[156:157], -v[90:91]
	v_add_f64 v[94:95], v[20:21], v[158:159]
	v_add_f64 v[20:21], v[102:103], v[152:153]
	;; [unrolled: 1-line block ×3, first 2 shown]
	v_fma_f64 v[70:71], -0.5, v[20:21], v[18:19]
	v_add_f64 v[20:21], v[108:109], -v[90:91]
	v_fmac_f64_e32 v[88:89], s[4:5], v[24:25]
	v_fmac_f64_e32 v[16:17], s[4:5], v[24:25]
	v_fma_f64 v[86:87], s[12:13], v[20:21], v[70:71]
	v_add_f64 v[22:23], v[116:117], -v[156:157]
	v_add_f64 v[24:25], v[100:101], -v[102:103]
	;; [unrolled: 1-line block ×3, first 2 shown]
	v_fmac_f64_e32 v[70:71], s[2:3], v[20:21]
	v_fmac_f64_e32 v[86:87], s[10:11], v[22:23]
	v_add_f64 v[24:25], v[24:25], v[28:29]
	v_fmac_f64_e32 v[70:71], s[8:9], v[22:23]
	v_fmac_f64_e32 v[86:87], s[4:5], v[24:25]
	;; [unrolled: 1-line block ×3, first 2 shown]
	v_add_f64 v[24:25], v[100:101], v[158:159]
	v_fmac_f64_e32 v[18:19], -0.5, v[24:25]
	v_fma_f64 v[90:91], s[2:3], v[22:23], v[18:19]
	v_fmac_f64_e32 v[18:19], s[12:13], v[22:23]
	v_fmac_f64_e32 v[90:91], s[10:11], v[20:21]
	;; [unrolled: 1-line block ×3, first 2 shown]
	v_add_f64 v[20:21], v[12:13], v[98:99]
	v_add_f64 v[20:21], v[20:21], v[106:107]
	;; [unrolled: 1-line block ×3, first 2 shown]
	v_accvgpr_write_b32 a24, v60
	v_add_f64 v[24:25], v[102:103], -v[100:101]
	v_add_f64 v[28:29], v[152:153], -v[158:159]
	v_add_f64 v[100:101], v[20:21], v[74:75]
	v_add_f64 v[20:21], v[106:107], v[112:113]
	v_fmac_f64_e32 v[124:125], v[34:35], v[60:61]
	v_accvgpr_write_b32 a25, v61
	v_accvgpr_write_b32 a26, v62
	;; [unrolled: 1-line block ×3, first 2 shown]
	v_add_f64 v[24:25], v[24:25], v[28:29]
	v_fma_f64 v[60:61], -0.5, v[20:21], v[12:13]
	v_add_f64 v[20:21], v[96:97], -v[110:111]
	v_fmac_f64_e32 v[90:91], s[4:5], v[24:25]
	v_fmac_f64_e32 v[18:19], s[4:5], v[24:25]
	v_fma_f64 v[80:81], s[2:3], v[20:21], v[60:61]
	v_add_f64 v[22:23], v[76:77], -v[78:79]
	v_add_f64 v[24:25], v[98:99], -v[106:107]
	;; [unrolled: 1-line block ×3, first 2 shown]
	v_fmac_f64_e32 v[60:61], s[12:13], v[20:21]
	v_fmac_f64_e32 v[80:81], s[8:9], v[22:23]
	v_add_f64 v[24:25], v[24:25], v[28:29]
	v_fmac_f64_e32 v[60:61], s[10:11], v[22:23]
	v_fmac_f64_e32 v[80:81], s[4:5], v[24:25]
	;; [unrolled: 1-line block ×3, first 2 shown]
	v_add_f64 v[24:25], v[98:99], v[74:75]
	v_fmac_f64_e32 v[12:13], -0.5, v[24:25]
	v_fma_f64 v[72:73], s[12:13], v[22:23], v[12:13]
	v_fmac_f64_e32 v[12:13], s[2:3], v[22:23]
	v_fmac_f64_e32 v[72:73], s[8:9], v[20:21]
	;; [unrolled: 1-line block ×3, first 2 shown]
	v_add_f64 v[20:21], v[14:15], v[96:97]
	v_add_f64 v[20:21], v[20:21], v[76:77]
	;; [unrolled: 1-line block ×3, first 2 shown]
	v_add_f64 v[24:25], v[106:107], -v[98:99]
	v_add_f64 v[28:29], v[112:113], -v[74:75]
	v_add_f64 v[102:103], v[20:21], v[110:111]
	v_add_f64 v[20:21], v[76:77], v[78:79]
	;; [unrolled: 1-line block ×3, first 2 shown]
	v_fma_f64 v[62:63], -0.5, v[20:21], v[14:15]
	v_add_f64 v[20:21], v[98:99], -v[74:75]
	v_fmac_f64_e32 v[72:73], s[4:5], v[24:25]
	v_fmac_f64_e32 v[12:13], s[4:5], v[24:25]
	v_fma_f64 v[82:83], s[12:13], v[20:21], v[62:63]
	v_add_f64 v[22:23], v[106:107], -v[112:113]
	v_add_f64 v[24:25], v[96:97], -v[76:77]
	;; [unrolled: 1-line block ×3, first 2 shown]
	v_fmac_f64_e32 v[62:63], s[2:3], v[20:21]
	v_fmac_f64_e32 v[82:83], s[10:11], v[22:23]
	v_add_f64 v[24:25], v[24:25], v[28:29]
	v_fmac_f64_e32 v[62:63], s[8:9], v[22:23]
	v_fmac_f64_e32 v[82:83], s[4:5], v[24:25]
	;; [unrolled: 1-line block ×3, first 2 shown]
	v_add_f64 v[24:25], v[96:97], v[110:111]
	v_fmac_f64_e32 v[14:15], -0.5, v[24:25]
	v_fma_f64 v[74:75], s[2:3], v[22:23], v[14:15]
	v_fmac_f64_e32 v[14:15], s[12:13], v[22:23]
	v_fmac_f64_e32 v[74:75], s[10:11], v[20:21]
	;; [unrolled: 1-line block ×3, first 2 shown]
	v_add_f64 v[20:21], v[8:9], v[160:161]
	v_add_f64 v[20:21], v[20:21], v[66:67]
	;; [unrolled: 1-line block ×3, first 2 shown]
	v_accvgpr_write_b32 a16, v42
	v_add_f64 v[24:25], v[76:77], -v[96:97]
	v_add_f64 v[28:29], v[78:79], -v[110:111]
	v_add_f64 v[76:77], v[20:21], v[58:59]
	v_add_f64 v[20:21], v[66:67], v[164:165]
	v_accvgpr_write_b32 a17, v43
	v_accvgpr_write_b32 a18, v44
	;; [unrolled: 1-line block ×3, first 2 shown]
	v_add_f64 v[24:25], v[24:25], v[28:29]
	v_fma_f64 v[44:45], -0.5, v[20:21], v[8:9]
	v_add_f64 v[20:21], v[114:115], -v[52:53]
	v_fmac_f64_e32 v[74:75], s[4:5], v[24:25]
	v_fmac_f64_e32 v[14:15], s[4:5], v[24:25]
	v_fma_f64 v[56:57], s[2:3], v[20:21], v[44:45]
	v_add_f64 v[22:23], v[154:155], -v[162:163]
	v_add_f64 v[24:25], v[160:161], -v[66:67]
	;; [unrolled: 1-line block ×3, first 2 shown]
	v_fmac_f64_e32 v[44:45], s[12:13], v[20:21]
	v_fmac_f64_e32 v[56:57], s[8:9], v[22:23]
	v_add_f64 v[24:25], v[24:25], v[28:29]
	v_fmac_f64_e32 v[44:45], s[10:11], v[22:23]
	v_fmac_f64_e32 v[56:57], s[4:5], v[24:25]
	;; [unrolled: 1-line block ×3, first 2 shown]
	v_add_f64 v[24:25], v[160:161], v[58:59]
	v_fmac_f64_e32 v[8:9], -0.5, v[24:25]
	v_fma_f64 v[64:65], s[12:13], v[22:23], v[8:9]
	v_fmac_f64_e32 v[8:9], s[2:3], v[22:23]
	v_fmac_f64_e32 v[64:65], s[8:9], v[20:21]
	;; [unrolled: 1-line block ×3, first 2 shown]
	v_add_f64 v[20:21], v[10:11], v[114:115]
	v_add_f64 v[20:21], v[20:21], v[154:155]
	v_add_f64 v[20:21], v[20:21], v[162:163]
	v_accvgpr_write_b32 a20, v46
	v_add_f64 v[24:25], v[66:67], -v[160:161]
	v_add_f64 v[28:29], v[164:165], -v[58:59]
	v_add_f64 v[78:79], v[20:21], v[52:53]
	v_add_f64 v[20:21], v[154:155], v[162:163]
	v_fmac_f64_e32 v[126:127], v[30:31], v[46:47]
	v_accvgpr_write_b32 a21, v47
	v_accvgpr_write_b32 a22, v48
	;; [unrolled: 1-line block ×3, first 2 shown]
	v_add_f64 v[24:25], v[24:25], v[28:29]
	v_fma_f64 v[46:47], -0.5, v[20:21], v[10:11]
	v_add_f64 v[20:21], v[160:161], -v[58:59]
	v_fmac_f64_e32 v[64:65], s[4:5], v[24:25]
	v_fmac_f64_e32 v[8:9], s[4:5], v[24:25]
	v_fma_f64 v[58:59], s[12:13], v[20:21], v[46:47]
	v_add_f64 v[22:23], v[66:67], -v[164:165]
	v_add_f64 v[24:25], v[114:115], -v[154:155]
	;; [unrolled: 1-line block ×3, first 2 shown]
	v_fmac_f64_e32 v[46:47], s[2:3], v[20:21]
	v_fmac_f64_e32 v[58:59], s[10:11], v[22:23]
	v_add_f64 v[24:25], v[24:25], v[28:29]
	v_fmac_f64_e32 v[46:47], s[8:9], v[22:23]
	v_fmac_f64_e32 v[58:59], s[4:5], v[24:25]
	;; [unrolled: 1-line block ×3, first 2 shown]
	v_add_f64 v[24:25], v[114:115], v[52:53]
	v_fmac_f64_e32 v[10:11], -0.5, v[24:25]
	v_fma_f64 v[66:67], s[2:3], v[22:23], v[10:11]
	v_fmac_f64_e32 v[10:11], s[12:13], v[22:23]
	v_fmac_f64_e32 v[66:67], s[10:11], v[20:21]
	;; [unrolled: 1-line block ×3, first 2 shown]
	v_add_f64 v[20:21], v[4:5], v[54:55]
	v_add_f64 v[20:21], v[20:21], v[122:123]
	;; [unrolled: 1-line block ×3, first 2 shown]
	v_accvgpr_write_b32 a12, v38
	v_add_f64 v[24:25], v[154:155], -v[114:115]
	v_add_f64 v[28:29], v[162:163], -v[52:53]
	v_add_f64 v[48:49], v[20:21], v[134:135]
	v_add_f64 v[20:21], v[122:123], v[118:119]
	v_accvgpr_write_b32 a13, v39
	v_accvgpr_write_b32 a14, v40
	;; [unrolled: 1-line block ×3, first 2 shown]
	v_add_f64 v[24:25], v[24:25], v[28:29]
	v_fma_f64 v[40:41], -0.5, v[20:21], v[4:5]
	v_add_f64 v[20:21], v[166:167], -v[170:171]
	v_fmac_f64_e32 v[66:67], s[4:5], v[24:25]
	v_fmac_f64_e32 v[10:11], s[4:5], v[24:25]
	v_fma_f64 v[52:53], s[2:3], v[20:21], v[40:41]
	v_add_f64 v[22:23], v[168:169], -v[120:121]
	v_add_f64 v[24:25], v[54:55], -v[122:123]
	;; [unrolled: 1-line block ×3, first 2 shown]
	v_fmac_f64_e32 v[40:41], s[12:13], v[20:21]
	v_fmac_f64_e32 v[52:53], s[8:9], v[22:23]
	v_add_f64 v[24:25], v[24:25], v[28:29]
	v_fmac_f64_e32 v[40:41], s[10:11], v[22:23]
	v_fmac_f64_e32 v[52:53], s[4:5], v[24:25]
	;; [unrolled: 1-line block ×3, first 2 shown]
	v_add_f64 v[24:25], v[54:55], v[134:135]
	v_fmac_f64_e32 v[4:5], -0.5, v[24:25]
	v_fma_f64 v[36:37], s[12:13], v[22:23], v[4:5]
	v_fmac_f64_e32 v[4:5], s[2:3], v[22:23]
	v_fmac_f64_e32 v[36:37], s[8:9], v[20:21]
	;; [unrolled: 1-line block ×3, first 2 shown]
	v_add_f64 v[20:21], v[6:7], v[166:167]
	v_add_f64 v[20:21], v[20:21], v[168:169]
	;; [unrolled: 1-line block ×3, first 2 shown]
	v_add_f64 v[24:25], v[122:123], -v[54:55]
	v_add_f64 v[28:29], v[118:119], -v[134:135]
	v_add_f64 v[50:51], v[20:21], v[170:171]
	v_add_f64 v[20:21], v[168:169], v[120:121]
	;; [unrolled: 1-line block ×3, first 2 shown]
	v_fma_f64 v[42:43], -0.5, v[20:21], v[6:7]
	v_add_f64 v[20:21], v[54:55], -v[134:135]
	v_fmac_f64_e32 v[36:37], s[4:5], v[24:25]
	v_fmac_f64_e32 v[4:5], s[4:5], v[24:25]
	v_fma_f64 v[54:55], s[12:13], v[20:21], v[42:43]
	v_add_f64 v[22:23], v[122:123], -v[118:119]
	v_add_f64 v[24:25], v[166:167], -v[168:169]
	;; [unrolled: 1-line block ×3, first 2 shown]
	v_fmac_f64_e32 v[42:43], s[2:3], v[20:21]
	v_fmac_f64_e32 v[54:55], s[10:11], v[22:23]
	v_add_f64 v[24:25], v[24:25], v[28:29]
	v_fmac_f64_e32 v[42:43], s[8:9], v[22:23]
	v_fmac_f64_e32 v[54:55], s[4:5], v[24:25]
	v_fmac_f64_e32 v[42:43], s[4:5], v[24:25]
	v_add_f64 v[24:25], v[166:167], v[170:171]
	v_fmac_f64_e32 v[6:7], -0.5, v[24:25]
	v_fma_f64 v[38:39], s[2:3], v[22:23], v[6:7]
	v_fmac_f64_e32 v[6:7], s[12:13], v[22:23]
	v_fmac_f64_e32 v[38:39], s[10:11], v[20:21]
	;; [unrolled: 1-line block ×3, first 2 shown]
	v_add_f64 v[20:21], v[0:1], v[132:133]
	v_add_f64 v[20:21], v[20:21], v[178:179]
	;; [unrolled: 1-line block ×3, first 2 shown]
	v_add_f64 v[24:25], v[168:169], -v[166:167]
	v_add_f64 v[28:29], v[120:121], -v[170:171]
	v_add_f64 v[32:33], v[20:21], v[26:27]
	v_add_f64 v[20:21], v[178:179], v[130:131]
	;; [unrolled: 1-line block ×3, first 2 shown]
	v_fma_f64 v[28:29], -0.5, v[20:21], v[0:1]
	v_add_f64 v[22:23], v[124:125], -v[128:129]
	v_fmac_f64_e32 v[38:39], s[4:5], v[24:25]
	v_fmac_f64_e32 v[6:7], s[4:5], v[24:25]
	v_fma_f64 v[24:25], s[2:3], v[22:23], v[28:29]
	v_add_f64 v[30:31], v[126:127], -v[174:175]
	v_add_f64 v[20:21], v[132:133], -v[178:179]
	;; [unrolled: 1-line block ×3, first 2 shown]
	v_fmac_f64_e32 v[28:29], s[12:13], v[22:23]
	v_fmac_f64_e32 v[24:25], s[8:9], v[30:31]
	v_add_f64 v[20:21], v[20:21], v[34:35]
	v_fmac_f64_e32 v[28:29], s[10:11], v[30:31]
	v_fmac_f64_e32 v[24:25], s[4:5], v[20:21]
	v_fmac_f64_e32 v[28:29], s[4:5], v[20:21]
	v_add_f64 v[20:21], v[132:133], v[26:27]
	v_fmac_f64_e32 v[0:1], -0.5, v[20:21]
	v_fma_f64 v[20:21], s[12:13], v[30:31], v[0:1]
	v_fmac_f64_e32 v[0:1], s[2:3], v[30:31]
	v_fmac_f64_e32 v[20:21], s[8:9], v[22:23]
	;; [unrolled: 1-line block ×3, first 2 shown]
	v_add_f64 v[22:23], v[2:3], v[124:125]
	v_add_f64 v[34:35], v[178:179], -v[132:133]
	v_add_f64 v[96:97], v[130:131], -v[26:27]
	v_add_f64 v[22:23], v[22:23], v[126:127]
	v_add_f64 v[34:35], v[34:35], v[96:97]
	;; [unrolled: 1-line block ×3, first 2 shown]
	v_fmac_f64_e32 v[20:21], s[4:5], v[34:35]
	v_fmac_f64_e32 v[0:1], s[4:5], v[34:35]
	v_add_f64 v[34:35], v[22:23], v[128:129]
	v_add_f64 v[22:23], v[126:127], v[174:175]
	v_fma_f64 v[30:31], -0.5, v[22:23], v[2:3]
	v_add_f64 v[96:97], v[132:133], -v[26:27]
	v_fma_f64 v[26:27], s[12:13], v[96:97], v[30:31]
	v_add_f64 v[98:99], v[178:179], -v[130:131]
	v_add_f64 v[22:23], v[124:125], -v[126:127]
	;; [unrolled: 1-line block ×3, first 2 shown]
	v_fmac_f64_e32 v[30:31], s[2:3], v[96:97]
	v_fmac_f64_e32 v[26:27], s[10:11], v[98:99]
	v_add_f64 v[22:23], v[22:23], v[106:107]
	v_fmac_f64_e32 v[30:31], s[8:9], v[98:99]
	v_fmac_f64_e32 v[26:27], s[4:5], v[22:23]
	;; [unrolled: 1-line block ×3, first 2 shown]
	v_add_f64 v[22:23], v[124:125], v[128:129]
	v_fmac_f64_e32 v[2:3], -0.5, v[22:23]
	v_fma_f64 v[22:23], s[2:3], v[98:99], v[2:3]
	v_add_f64 v[106:107], v[126:127], -v[124:125]
	v_add_f64 v[108:109], v[174:175], -v[128:129]
	v_fmac_f64_e32 v[2:3], s[12:13], v[98:99]
	v_fmac_f64_e32 v[22:23], s[10:11], v[96:97]
	v_add_f64 v[106:107], v[106:107], v[108:109]
	v_fmac_f64_e32 v[2:3], s[8:9], v[96:97]
	ds_write_b128 v228, v[92:95]
	ds_write_b128 v228, v[84:87] offset:2000
	ds_write_b128 v228, v[88:91] offset:4000
	;; [unrolled: 1-line block ×9, first 2 shown]
	v_add_co_u32_e32 v102, vcc, s16, v104
	v_fmac_f64_e32 v[22:23], s[4:5], v[106:107]
	v_fmac_f64_e32 v[2:3], s[4:5], v[106:107]
	v_lshlrev_b32_e32 v12, 4, v177
	v_lshlrev_b32_e32 v177, 4, v173
	v_addc_co_u32_e32 v103, vcc, 0, v105, vcc
	ds_write_b128 v12, v[76:79] offset:20000
	ds_write_b128 v12, v[56:59] offset:22000
	scratch_store_dword off, v12, off offset:264 ; 4-byte Folded Spill
	ds_write_b128 v12, v[64:67] offset:24000
	ds_write_b128 v12, v[8:11] offset:26000
	;; [unrolled: 1-line block ×13, first 2 shown]
	s_waitcnt lgkmcnt(0)
	s_barrier
	ds_read_b128 v[12:15], v228
	ds_read_b128 v[96:99], v228 offset:10000
	ds_read_b128 v[92:95], v228 offset:20000
	;; [unrolled: 1-line block ×24, first 2 shown]
	v_lshl_add_u64 v[100:101], v[104:105], 0, s[14:15]
	global_load_dwordx4 v[222:225], v[102:103], off offset:1728
	s_nop 0
	global_load_dwordx4 v[102:105], v[100:101], off offset:48
	global_load_dwordx4 v[106:109], v[100:101], off offset:32
	;; [unrolled: 1-line block ×3, first 2 shown]
	s_waitcnt vmcnt(3) lgkmcnt(14)
	v_mul_f64 v[100:101], v[98:99], v[224:225]
	v_fma_f64 v[124:125], v[96:97], v[222:223], -v[100:101]
	v_mul_f64 v[96:97], v[96:97], v[224:225]
	v_fmac_f64_e32 v[96:97], v[98:99], v[222:223]
	s_waitcnt vmcnt(0)
	v_mul_f64 v[98:99], v[94:95], v[112:113]
	v_fma_f64 v[122:123], v[92:93], v[110:111], -v[98:99]
	v_mul_f64 v[92:93], v[92:93], v[112:113]
	v_fmac_f64_e32 v[92:93], v[94:95], v[110:111]
	v_mul_f64 v[94:95], v[90:91], v[108:109]
	v_fma_f64 v[120:121], v[88:89], v[106:107], -v[94:95]
	v_mul_f64 v[88:89], v[88:89], v[108:109]
	v_fmac_f64_e32 v[88:89], v[90:91], v[106:107]
	;; [unrolled: 4-line block ×3, first 2 shown]
	v_lshlrev_b32_e32 v86, 6, v184
	v_mov_b32_e32 v87, v229
	v_lshl_add_u64 v[86:87], s[6:7], 0, v[86:87]
	v_lshl_add_u64 v[90:91], v[86:87], 0, s[14:15]
	v_add_co_u32_e32 v86, vcc, s16, v86
	v_accvgpr_write_b32 a4, v106
	s_nop 0
	v_addc_co_u32_e32 v87, vcc, 0, v87, vcc
	global_load_dwordx4 v[206:209], v[86:87], off offset:1728
	global_load_dwordx4 v[218:221], v[90:91], off offset:48
	;; [unrolled: 1-line block ×4, first 2 shown]
	v_accvgpr_write_b32 a5, v107
	v_accvgpr_write_b32 a6, v108
	;; [unrolled: 1-line block ×11, first 2 shown]
	s_waitcnt vmcnt(3)
	v_mul_f64 v[86:87], v[82:83], v[208:209]
	v_fma_f64 v[106:107], v[80:81], v[206:207], -v[86:87]
	v_mul_f64 v[90:91], v[80:81], v[208:209]
	s_waitcnt vmcnt(0)
	v_mul_f64 v[80:81], v[78:79], v[212:213]
	v_fma_f64 v[108:109], v[76:77], v[210:211], -v[80:81]
	v_mul_f64 v[104:105], v[76:77], v[212:213]
	v_mul_f64 v[76:77], v[74:75], v[216:217]
	v_fma_f64 v[110:111], v[72:73], v[214:215], -v[76:77]
	v_mul_f64 v[72:73], v[72:73], v[216:217]
	v_fmac_f64_e32 v[72:73], v[74:75], v[214:215]
	v_mul_f64 v[74:75], v[70:71], v[220:221]
	v_fma_f64 v[102:103], v[68:69], v[218:219], -v[74:75]
	v_mul_f64 v[68:69], v[68:69], v[220:221]
	v_fmac_f64_e32 v[68:69], v[70:71], v[218:219]
	v_lshlrev_b32_e32 v70, 6, v182
	v_mov_b32_e32 v71, v229
	v_lshl_add_u64 v[70:71], s[6:7], 0, v[70:71]
	v_lshl_add_u64 v[74:75], v[70:71], 0, s[14:15]
	v_add_co_u32_e32 v70, vcc, s16, v70
	v_fmac_f64_e32 v[104:105], v[78:79], v[210:211]
	s_nop 0
	v_addc_co_u32_e32 v71, vcc, 0, v71, vcc
	global_load_dwordx4 v[190:193], v[70:71], off offset:1728
	global_load_dwordx4 v[202:205], v[74:75], off offset:48
	;; [unrolled: 1-line block ×4, first 2 shown]
	v_fmac_f64_e32 v[90:91], v[82:83], v[206:207]
	s_waitcnt vmcnt(3) lgkmcnt(13)
	v_mul_f64 v[70:71], v[66:67], v[192:193]
	v_fma_f64 v[100:101], v[64:65], v[190:191], -v[70:71]
	v_mul_f64 v[64:65], v[64:65], v[192:193]
	v_fmac_f64_e32 v[64:65], v[66:67], v[190:191]
	s_waitcnt vmcnt(0) lgkmcnt(12)
	v_mul_f64 v[66:67], v[62:63], v[196:197]
	v_fma_f64 v[98:99], v[60:61], v[194:195], -v[66:67]
	v_mul_f64 v[60:61], v[60:61], v[196:197]
	v_fmac_f64_e32 v[60:61], v[62:63], v[194:195]
	s_waitcnt lgkmcnt(11)
	v_mul_f64 v[62:63], v[58:59], v[200:201]
	v_fma_f64 v[114:115], v[56:57], v[198:199], -v[62:63]
	v_mul_f64 v[62:63], v[56:57], v[200:201]
	s_waitcnt lgkmcnt(10)
	v_mul_f64 v[56:57], v[54:55], v[204:205]
	v_fmac_f64_e32 v[62:63], v[58:59], v[198:199]
	v_fma_f64 v[58:59], v[52:53], v[202:203], -v[56:57]
	v_mul_f64 v[112:113], v[52:53], v[204:205]
	v_lshlrev_b32_e32 v52, 6, v180
	v_mov_b32_e32 v53, v229
	v_lshl_add_u64 v[52:53], s[6:7], 0, v[52:53]
	v_fmac_f64_e32 v[112:113], v[54:55], v[202:203]
	v_lshl_add_u64 v[54:55], v[52:53], 0, s[14:15]
	v_add_co_u32_e32 v52, vcc, s16, v52
	s_nop 1
	v_addc_co_u32_e32 v53, vcc, 0, v53, vcc
	global_load_dwordx4 v[168:171], v[52:53], off offset:1728
	global_load_dwordx4 v[186:189], v[54:55], off offset:48
	global_load_dwordx4 v[182:185], v[54:55], off offset:32
	global_load_dwordx4 v[178:181], v[54:55], off offset:16
	s_waitcnt vmcnt(3) lgkmcnt(8)
	v_mul_f64 v[52:53], v[46:47], v[170:171]
	v_fma_f64 v[94:95], v[44:45], v[168:169], -v[52:53]
	v_mul_f64 v[116:117], v[44:45], v[170:171]
	s_waitcnt vmcnt(0) lgkmcnt(7)
	v_mul_f64 v[44:45], v[42:43], v[180:181]
	v_fma_f64 v[76:77], v[40:41], v[178:179], -v[44:45]
	v_mul_f64 v[86:87], v[40:41], v[180:181]
	s_waitcnt lgkmcnt(6)
	v_mul_f64 v[40:41], v[34:35], v[184:185]
	v_fma_f64 v[74:75], v[32:33], v[182:183], -v[40:41]
	v_mul_f64 v[78:79], v[32:33], v[184:185]
	s_waitcnt lgkmcnt(5)
	v_mul_f64 v[32:33], v[26:27], v[188:189]
	v_fma_f64 v[70:71], v[24:25], v[186:187], -v[32:33]
	v_mul_f64 v[24:25], v[24:25], v[188:189]
	v_fmac_f64_e32 v[24:25], v[26:27], v[186:187]
	v_lshlrev_b32_e32 v26, 6, v172
	v_mov_b32_e32 v27, v229
	v_lshl_add_u64 v[26:27], s[6:7], 0, v[26:27]
	v_lshl_add_u64 v[32:33], v[26:27], 0, s[14:15]
	v_add_co_u32_e32 v26, vcc, s16, v26
	v_fmac_f64_e32 v[78:79], v[34:35], v[182:183]
	s_nop 0
	v_addc_co_u32_e32 v27, vcc, 0, v27, vcc
	global_load_dwordx4 v[152:155], v[26:27], off offset:1728
	global_load_dwordx4 v[164:167], v[32:33], off offset:48
	;; [unrolled: 1-line block ×4, first 2 shown]
	v_fmac_f64_e32 v[86:87], v[42:43], v[178:179]
	v_fmac_f64_e32 v[116:117], v[46:47], v[168:169]
	s_mov_b64 s[6:7], 0xc350
	s_waitcnt vmcnt(3) lgkmcnt(3)
	v_mul_f64 v[26:27], v[18:19], v[154:155]
	v_fma_f64 v[172:173], v[16:17], v[152:153], -v[26:27]
	v_mul_f64 v[134:135], v[16:17], v[154:155]
	s_waitcnt vmcnt(0) lgkmcnt(2)
	v_mul_f64 v[16:17], v[10:11], v[158:159]
	v_fma_f64 v[66:67], v[8:9], v[156:157], -v[16:17]
	v_mul_f64 v[132:133], v[8:9], v[158:159]
	s_waitcnt lgkmcnt(1)
	v_mul_f64 v[8:9], v[6:7], v[162:163]
	v_fma_f64 v[56:57], v[4:5], v[160:161], -v[8:9]
	v_mul_f64 v[174:175], v[4:5], v[162:163]
	s_waitcnt lgkmcnt(0)
	v_mul_f64 v[4:5], v[2:3], v[166:167]
	v_fma_f64 v[248:249], v[0:1], v[164:165], -v[4:5]
	v_mul_f64 v[130:131], v[0:1], v[166:167]
	v_add_f64 v[0:1], v[12:13], v[124:125]
	v_add_f64 v[0:1], v[0:1], v[122:123]
	;; [unrolled: 1-line block ×5, first 2 shown]
	v_fmac_f64_e32 v[130:131], v[2:3], v[164:165]
	v_fma_f64 v[0:1], -0.5, v[0:1], v[12:13]
	v_add_f64 v[2:3], v[96:97], -v[84:85]
	v_fmac_f64_e32 v[174:175], v[6:7], v[160:161]
	v_fma_f64 v[32:33], s[2:3], v[2:3], v[0:1]
	v_add_f64 v[4:5], v[92:93], -v[88:89]
	v_add_f64 v[6:7], v[124:125], -v[122:123]
	;; [unrolled: 1-line block ×3, first 2 shown]
	v_fmac_f64_e32 v[0:1], s[12:13], v[2:3]
	v_fmac_f64_e32 v[32:33], s[8:9], v[4:5]
	v_add_f64 v[6:7], v[6:7], v[8:9]
	v_fmac_f64_e32 v[0:1], s[10:11], v[4:5]
	v_fmac_f64_e32 v[32:33], s[4:5], v[6:7]
	;; [unrolled: 1-line block ×3, first 2 shown]
	v_add_f64 v[6:7], v[124:125], v[118:119]
	v_fmac_f64_e32 v[12:13], -0.5, v[6:7]
	v_fma_f64 v[80:81], s[12:13], v[4:5], v[12:13]
	v_fmac_f64_e32 v[12:13], s[2:3], v[4:5]
	v_fmac_f64_e32 v[80:81], s[8:9], v[2:3]
	;; [unrolled: 1-line block ×3, first 2 shown]
	v_add_f64 v[2:3], v[14:15], v[96:97]
	v_add_f64 v[2:3], v[2:3], v[92:93]
	;; [unrolled: 1-line block ×3, first 2 shown]
	v_add_f64 v[6:7], v[122:123], -v[124:125]
	v_add_f64 v[8:9], v[120:121], -v[118:119]
	v_add_f64 v[128:129], v[2:3], v[84:85]
	v_add_f64 v[2:3], v[92:93], v[88:89]
	;; [unrolled: 1-line block ×3, first 2 shown]
	v_fma_f64 v[2:3], -0.5, v[2:3], v[14:15]
	v_add_f64 v[4:5], v[124:125], -v[118:119]
	v_fmac_f64_e32 v[132:133], v[10:11], v[156:157]
	v_fmac_f64_e32 v[80:81], s[4:5], v[6:7]
	;; [unrolled: 1-line block ×3, first 2 shown]
	v_fma_f64 v[34:35], s[12:13], v[4:5], v[2:3]
	v_add_f64 v[6:7], v[122:123], -v[120:121]
	v_add_f64 v[8:9], v[96:97], -v[92:93]
	;; [unrolled: 1-line block ×3, first 2 shown]
	v_fmac_f64_e32 v[2:3], s[2:3], v[4:5]
	v_fmac_f64_e32 v[34:35], s[10:11], v[6:7]
	v_add_f64 v[8:9], v[8:9], v[10:11]
	v_fmac_f64_e32 v[2:3], s[8:9], v[6:7]
	v_fmac_f64_e32 v[34:35], s[4:5], v[8:9]
	;; [unrolled: 1-line block ×3, first 2 shown]
	v_add_f64 v[8:9], v[96:97], v[84:85]
	v_fmac_f64_e32 v[14:15], -0.5, v[8:9]
	v_fma_f64 v[82:83], s[2:3], v[6:7], v[14:15]
	v_fmac_f64_e32 v[14:15], s[12:13], v[6:7]
	v_fmac_f64_e32 v[82:83], s[10:11], v[4:5]
	;; [unrolled: 1-line block ×3, first 2 shown]
	v_add_f64 v[4:5], v[20:21], v[106:107]
	v_add_f64 v[4:5], v[4:5], v[108:109]
	;; [unrolled: 1-line block ×3, first 2 shown]
	v_add_f64 v[8:9], v[92:93], -v[96:97]
	v_add_f64 v[10:11], v[88:89], -v[84:85]
	v_add_f64 v[118:119], v[4:5], v[102:103]
	v_add_f64 v[4:5], v[108:109], v[110:111]
	;; [unrolled: 1-line block ×3, first 2 shown]
	v_fma_f64 v[4:5], -0.5, v[4:5], v[20:21]
	v_add_f64 v[6:7], v[90:91], -v[68:69]
	v_fmac_f64_e32 v[82:83], s[4:5], v[8:9]
	v_fmac_f64_e32 v[14:15], s[4:5], v[8:9]
	v_fma_f64 v[40:41], s[2:3], v[6:7], v[4:5]
	v_add_f64 v[8:9], v[104:105], -v[72:73]
	v_add_f64 v[10:11], v[106:107], -v[108:109]
	;; [unrolled: 1-line block ×3, first 2 shown]
	v_fmac_f64_e32 v[4:5], s[12:13], v[6:7]
	v_fmac_f64_e32 v[40:41], s[8:9], v[8:9]
	v_add_f64 v[10:11], v[10:11], v[16:17]
	v_fmac_f64_e32 v[4:5], s[10:11], v[8:9]
	v_fmac_f64_e32 v[40:41], s[4:5], v[10:11]
	;; [unrolled: 1-line block ×3, first 2 shown]
	v_add_f64 v[10:11], v[106:107], v[102:103]
	v_fmac_f64_e32 v[20:21], -0.5, v[10:11]
	v_fma_f64 v[44:45], s[12:13], v[8:9], v[20:21]
	v_fmac_f64_e32 v[20:21], s[2:3], v[8:9]
	v_fmac_f64_e32 v[44:45], s[8:9], v[6:7]
	;; [unrolled: 1-line block ×3, first 2 shown]
	v_add_f64 v[6:7], v[22:23], v[90:91]
	v_add_f64 v[6:7], v[6:7], v[104:105]
	;; [unrolled: 1-line block ×3, first 2 shown]
	v_add_f64 v[10:11], v[108:109], -v[106:107]
	v_add_f64 v[16:17], v[110:111], -v[102:103]
	v_add_f64 v[120:121], v[6:7], v[68:69]
	v_add_f64 v[6:7], v[104:105], v[72:73]
	;; [unrolled: 1-line block ×3, first 2 shown]
	v_fma_f64 v[6:7], -0.5, v[6:7], v[22:23]
	v_add_f64 v[8:9], v[106:107], -v[102:103]
	v_fmac_f64_e32 v[134:135], v[18:19], v[152:153]
	v_fmac_f64_e32 v[44:45], s[4:5], v[10:11]
	;; [unrolled: 1-line block ×3, first 2 shown]
	v_fma_f64 v[42:43], s[12:13], v[8:9], v[6:7]
	v_add_f64 v[10:11], v[108:109], -v[110:111]
	v_add_f64 v[16:17], v[90:91], -v[104:105]
	v_add_f64 v[18:19], v[68:69], -v[72:73]
	v_fmac_f64_e32 v[6:7], s[2:3], v[8:9]
	v_fmac_f64_e32 v[42:43], s[10:11], v[10:11]
	v_add_f64 v[16:17], v[16:17], v[18:19]
	v_fmac_f64_e32 v[6:7], s[8:9], v[10:11]
	v_fmac_f64_e32 v[42:43], s[4:5], v[16:17]
	v_fmac_f64_e32 v[6:7], s[4:5], v[16:17]
	v_add_f64 v[16:17], v[90:91], v[68:69]
	v_fmac_f64_e32 v[22:23], -0.5, v[16:17]
	v_fma_f64 v[46:47], s[2:3], v[10:11], v[22:23]
	v_fmac_f64_e32 v[22:23], s[12:13], v[10:11]
	v_fmac_f64_e32 v[46:47], s[10:11], v[8:9]
	v_fmac_f64_e32 v[22:23], s[8:9], v[8:9]
	v_add_f64 v[8:9], v[28:29], v[100:101]
	v_add_f64 v[8:9], v[8:9], v[98:99]
	v_add_f64 v[8:9], v[8:9], v[114:115]
	v_add_f64 v[16:17], v[104:105], -v[90:91]
	v_add_f64 v[18:19], v[72:73], -v[68:69]
	v_add_f64 v[88:89], v[8:9], v[58:59]
	v_add_f64 v[8:9], v[98:99], v[114:115]
	v_add_f64 v[16:17], v[16:17], v[18:19]
	v_fma_f64 v[8:9], -0.5, v[8:9], v[28:29]
	v_add_f64 v[10:11], v[64:65], -v[112:113]
	v_fmac_f64_e32 v[46:47], s[4:5], v[16:17]
	v_fmac_f64_e32 v[22:23], s[4:5], v[16:17]
	v_fma_f64 v[52:53], s[2:3], v[10:11], v[8:9]
	v_add_f64 v[16:17], v[60:61], -v[62:63]
	v_add_f64 v[18:19], v[100:101], -v[98:99]
	v_add_f64 v[26:27], v[58:59], -v[114:115]
	v_fmac_f64_e32 v[8:9], s[12:13], v[10:11]
	v_fmac_f64_e32 v[52:53], s[8:9], v[16:17]
	v_add_f64 v[18:19], v[18:19], v[26:27]
	v_fmac_f64_e32 v[8:9], s[10:11], v[16:17]
	v_fmac_f64_e32 v[52:53], s[4:5], v[18:19]
	v_fmac_f64_e32 v[8:9], s[4:5], v[18:19]
	v_add_f64 v[18:19], v[100:101], v[58:59]
	v_fmac_f64_e32 v[28:29], -0.5, v[18:19]
	v_fma_f64 v[108:109], s[12:13], v[16:17], v[28:29]
	v_fmac_f64_e32 v[28:29], s[2:3], v[16:17]
	v_fmac_f64_e32 v[108:109], s[8:9], v[10:11]
	v_fmac_f64_e32 v[28:29], s[10:11], v[10:11]
	v_add_f64 v[10:11], v[30:31], v[64:65]
	v_add_f64 v[10:11], v[10:11], v[60:61]
	v_add_f64 v[10:11], v[10:11], v[62:63]
	v_add_f64 v[18:19], v[98:99], -v[100:101]
	v_add_f64 v[26:27], v[114:115], -v[58:59]
	v_add_f64 v[90:91], v[10:11], v[112:113]
	v_add_f64 v[10:11], v[60:61], v[62:63]
	v_add_f64 v[18:19], v[18:19], v[26:27]
	v_fma_f64 v[10:11], -0.5, v[10:11], v[30:31]
	v_add_f64 v[16:17], v[100:101], -v[58:59]
	v_fmac_f64_e32 v[108:109], s[4:5], v[18:19]
	v_fmac_f64_e32 v[28:29], s[4:5], v[18:19]
	;; [unrolled: 28-line block ×4, first 2 shown]
	v_fma_f64 v[62:63], s[12:13], v[26:27], v[18:19]
	v_add_f64 v[58:59], v[76:77], -v[74:75]
	v_add_f64 v[64:65], v[116:117], -v[86:87]
	v_add_f64 v[68:69], v[24:25], -v[78:79]
	v_fmac_f64_e32 v[18:19], s[2:3], v[26:27]
	v_fmac_f64_e32 v[62:63], s[10:11], v[58:59]
	v_add_f64 v[64:65], v[64:65], v[68:69]
	v_fmac_f64_e32 v[18:19], s[8:9], v[58:59]
	v_fmac_f64_e32 v[62:63], s[4:5], v[64:65]
	;; [unrolled: 1-line block ×3, first 2 shown]
	v_add_f64 v[64:65], v[116:117], v[24:25]
	v_fmac_f64_e32 v[38:39], -0.5, v[64:65]
	v_fma_f64 v[102:103], s[2:3], v[58:59], v[38:39]
	v_add_f64 v[64:65], v[86:87], -v[116:117]
	v_add_f64 v[24:25], v[78:79], -v[24:25]
	v_fmac_f64_e32 v[38:39], s[12:13], v[58:59]
	v_fmac_f64_e32 v[102:103], s[10:11], v[26:27]
	v_add_f64 v[24:25], v[64:65], v[24:25]
	v_fmac_f64_e32 v[38:39], s[8:9], v[26:27]
	v_fmac_f64_e32 v[102:103], s[4:5], v[24:25]
	v_fmac_f64_e32 v[38:39], s[4:5], v[24:25]
	v_add_f64 v[24:25], v[48:49], v[172:173]
	v_add_f64 v[24:25], v[24:25], v[66:67]
	;; [unrolled: 1-line block ×5, first 2 shown]
	v_fma_f64 v[24:25], -0.5, v[24:25], v[48:49]
	v_add_f64 v[26:27], v[134:135], -v[130:131]
	v_fma_f64 v[68:69], s[2:3], v[26:27], v[24:25]
	v_add_f64 v[58:59], v[132:133], -v[174:175]
	v_add_f64 v[64:65], v[172:173], -v[66:67]
	;; [unrolled: 1-line block ×3, first 2 shown]
	v_fmac_f64_e32 v[24:25], s[12:13], v[26:27]
	v_fmac_f64_e32 v[68:69], s[8:9], v[58:59]
	v_add_f64 v[64:65], v[64:65], v[70:71]
	v_fmac_f64_e32 v[24:25], s[10:11], v[58:59]
	v_fmac_f64_e32 v[68:69], s[4:5], v[64:65]
	;; [unrolled: 1-line block ×3, first 2 shown]
	v_add_f64 v[64:65], v[172:173], v[248:249]
	v_fmac_f64_e32 v[48:49], -0.5, v[64:65]
	v_fma_f64 v[72:73], s[12:13], v[58:59], v[48:49]
	v_fmac_f64_e32 v[48:49], s[2:3], v[58:59]
	v_fmac_f64_e32 v[72:73], s[8:9], v[26:27]
	;; [unrolled: 1-line block ×3, first 2 shown]
	v_add_f64 v[26:27], v[50:51], v[134:135]
	v_add_f64 v[26:27], v[26:27], v[132:133]
	;; [unrolled: 1-line block ×3, first 2 shown]
	v_add_f64 v[64:65], v[66:67], -v[172:173]
	v_add_f64 v[70:71], v[56:57], -v[248:249]
	v_add_f64 v[98:99], v[26:27], v[130:131]
	v_add_f64 v[26:27], v[132:133], v[174:175]
	v_add_f64 v[64:65], v[64:65], v[70:71]
	v_fma_f64 v[26:27], -0.5, v[26:27], v[50:51]
	v_add_f64 v[58:59], v[172:173], -v[248:249]
	v_fmac_f64_e32 v[72:73], s[4:5], v[64:65]
	v_fmac_f64_e32 v[48:49], s[4:5], v[64:65]
	v_fma_f64 v[70:71], s[12:13], v[58:59], v[26:27]
	v_add_f64 v[56:57], v[66:67], -v[56:57]
	v_add_f64 v[64:65], v[134:135], -v[132:133]
	;; [unrolled: 1-line block ×3, first 2 shown]
	v_fmac_f64_e32 v[26:27], s[2:3], v[58:59]
	v_fmac_f64_e32 v[70:71], s[10:11], v[56:57]
	v_add_f64 v[64:65], v[64:65], v[66:67]
	v_fmac_f64_e32 v[26:27], s[8:9], v[56:57]
	v_fmac_f64_e32 v[70:71], s[4:5], v[64:65]
	;; [unrolled: 1-line block ×3, first 2 shown]
	v_add_f64 v[64:65], v[134:135], v[130:131]
	v_fmac_f64_e32 v[50:51], -0.5, v[64:65]
	v_fma_f64 v[74:75], s[2:3], v[56:57], v[50:51]
	v_add_f64 v[64:65], v[132:133], -v[134:135]
	v_add_f64 v[66:67], v[174:175], -v[130:131]
	v_fmac_f64_e32 v[50:51], s[12:13], v[56:57]
	v_fmac_f64_e32 v[74:75], s[10:11], v[58:59]
	v_add_f64 v[64:65], v[64:65], v[66:67]
	v_fmac_f64_e32 v[50:51], s[8:9], v[58:59]
	v_fmac_f64_e32 v[74:75], s[4:5], v[64:65]
	;; [unrolled: 1-line block ×3, first 2 shown]
	ds_write_b128 v228, v[126:129]
	ds_write_b128 v228, v[32:35] offset:10000
	ds_write_b128 v228, v[80:83] offset:20000
	;; [unrolled: 1-line block ×24, first 2 shown]
	v_lshl_add_u64 v[20:21], v[136:137], 0, s[6:7]
	s_mov_b32 s6, 0xc000
	v_add_co_u32_e32 v4, vcc, s6, v136
	s_waitcnt lgkmcnt(0)
	s_nop 0
	v_addc_co_u32_e32 v5, vcc, 0, v137, vcc
	s_barrier
	global_load_dwordx4 v[4:7], v[4:5], off offset:848
	ds_read_b128 v[0:3], v228
	s_mov_b32 s6, 0xe000
	s_waitcnt vmcnt(0) lgkmcnt(0)
	v_mul_f64 v[8:9], v[2:3], v[6:7]
	v_mul_f64 v[10:11], v[0:1], v[6:7]
	v_fma_f64 v[8:9], v[0:1], v[4:5], -v[8:9]
	v_fmac_f64_e32 v[10:11], v[2:3], v[4:5]
	ds_write_b128 v228, v[8:11]
	v_add_co_u32_e32 v10, vcc, s6, v136
	ds_read_b128 v[0:3], v228 offset:10000
	s_nop 0
	v_addc_co_u32_e32 v11, vcc, 0, v137, vcc
	global_load_dwordx4 v[4:7], v[10:11], off offset:2656
	s_mov_b32 s6, 0x11000
	v_add_co_u32_e32 v22, vcc, s6, v136
	s_mov_b32 s6, 0x13000
	s_nop 0
	v_addc_co_u32_e32 v23, vcc, 0, v137, vcc
	s_waitcnt vmcnt(0) lgkmcnt(0)
	v_mul_f64 v[8:9], v[2:3], v[6:7]
	v_mul_f64 v[14:15], v[0:1], v[6:7]
	v_fma_f64 v[12:13], v[0:1], v[4:5], -v[8:9]
	v_fmac_f64_e32 v[14:15], v[2:3], v[4:5]
	global_load_dwordx4 v[4:7], v[22:23], off offset:368
	ds_read_b128 v[0:3], v228 offset:20000
	ds_write_b128 v228, v[12:15] offset:10000
	s_waitcnt vmcnt(0) lgkmcnt(1)
	v_mul_f64 v[8:9], v[2:3], v[6:7]
	v_fma_f64 v[12:13], v[0:1], v[4:5], -v[8:9]
	v_add_co_u32_e32 v8, vcc, s6, v136
	v_mul_f64 v[14:15], v[0:1], v[6:7]
	s_nop 0
	v_addc_co_u32_e32 v9, vcc, 0, v137, vcc
	v_fmac_f64_e32 v[14:15], v[2:3], v[4:5]
	global_load_dwordx4 v[4:7], v[8:9], off offset:2176
	ds_read_b128 v[0:3], v228 offset:30000
	s_mov_b32 s6, 0x15000
	ds_write_b128 v228, v[12:15] offset:20000
	s_waitcnt vmcnt(0) lgkmcnt(1)
	v_mul_f64 v[12:13], v[2:3], v[6:7]
	v_mul_f64 v[14:15], v[0:1], v[6:7]
	v_add_co_u32_e32 v6, vcc, s6, v136
	v_fma_f64 v[12:13], v[0:1], v[4:5], -v[12:13]
	v_fmac_f64_e32 v[14:15], v[2:3], v[4:5]
	v_addc_co_u32_e32 v7, vcc, 0, v137, vcc
	ds_write_b128 v228, v[12:15] offset:30000
	global_load_dwordx4 v[12:15], v[6:7], off offset:3984
	ds_read_b128 v[0:3], v228 offset:40000
	s_mov_b32 s6, 0xf000
	s_waitcnt vmcnt(0) lgkmcnt(0)
	v_mul_f64 v[4:5], v[2:3], v[14:15]
	v_mul_f64 v[18:19], v[0:1], v[14:15]
	v_fma_f64 v[16:17], v[0:1], v[12:13], -v[4:5]
	v_fmac_f64_e32 v[18:19], v[2:3], v[12:13]
	global_load_dwordx4 v[12:15], v[20:21], off offset:2000
	ds_read_b128 v[0:3], v228 offset:2000
	ds_write_b128 v228, v[16:19] offset:40000
	s_waitcnt vmcnt(0) lgkmcnt(1)
	v_mul_f64 v[4:5], v[2:3], v[14:15]
	v_fma_f64 v[16:17], v[0:1], v[12:13], -v[4:5]
	v_add_co_u32_e32 v4, vcc, s6, v136
	v_mul_f64 v[18:19], v[0:1], v[14:15]
	s_nop 0
	v_addc_co_u32_e32 v5, vcc, 0, v137, vcc
	v_fmac_f64_e32 v[18:19], v[2:3], v[12:13]
	global_load_dwordx4 v[12:15], v[4:5], off offset:560
	ds_read_b128 v[0:3], v228 offset:12000
	ds_write_b128 v228, v[16:19] offset:2000
	s_mov_b32 s6, 0x14000
	s_waitcnt vmcnt(0) lgkmcnt(1)
	v_mul_f64 v[16:17], v[2:3], v[14:15]
	v_mul_f64 v[18:19], v[0:1], v[14:15]
	v_fma_f64 v[16:17], v[0:1], v[12:13], -v[16:17]
	v_fmac_f64_e32 v[18:19], v[2:3], v[12:13]
	global_load_dwordx4 v[12:15], v[22:23], off offset:2368
	ds_read_b128 v[0:3], v228 offset:22000
	v_add_co_u32_e32 v22, vcc, s6, v136
	ds_write_b128 v228, v[16:19] offset:12000
	s_nop 0
	v_addc_co_u32_e32 v23, vcc, 0, v137, vcc
	s_mov_b32 s6, 0x16000
	v_add_co_u32_e32 v24, vcc, s6, v136
	s_mov_b32 s6, 0x12000
	s_nop 0
	v_addc_co_u32_e32 v25, vcc, 0, v137, vcc
	s_waitcnt vmcnt(0) lgkmcnt(1)
	v_mul_f64 v[16:17], v[2:3], v[14:15]
	v_mul_f64 v[18:19], v[0:1], v[14:15]
	v_fma_f64 v[16:17], v[0:1], v[12:13], -v[16:17]
	v_fmac_f64_e32 v[18:19], v[2:3], v[12:13]
	global_load_dwordx4 v[12:15], v[22:23], off offset:80
	ds_read_b128 v[0:3], v228 offset:32000
	ds_write_b128 v228, v[16:19] offset:22000
	s_waitcnt vmcnt(0) lgkmcnt(1)
	v_mul_f64 v[16:17], v[2:3], v[14:15]
	v_mul_f64 v[18:19], v[0:1], v[14:15]
	v_fma_f64 v[16:17], v[0:1], v[12:13], -v[16:17]
	v_fmac_f64_e32 v[18:19], v[2:3], v[12:13]
	global_load_dwordx4 v[12:15], v[24:25], off offset:1888
	ds_read_b128 v[0:3], v228 offset:42000
	ds_write_b128 v228, v[16:19] offset:32000
	;; [unrolled: 8-line block ×4, first 2 shown]
	s_waitcnt vmcnt(0) lgkmcnt(1)
	v_mul_f64 v[4:5], v[2:3], v[14:15]
	v_fma_f64 v[16:17], v[0:1], v[12:13], -v[4:5]
	v_add_co_u32_e32 v4, vcc, s6, v136
	v_mul_f64 v[18:19], v[0:1], v[14:15]
	s_nop 0
	v_addc_co_u32_e32 v5, vcc, 0, v137, vcc
	v_fmac_f64_e32 v[18:19], v[2:3], v[12:13]
	global_load_dwordx4 v[12:15], v[4:5], off offset:272
	ds_read_b128 v[0:3], v228 offset:24000
	ds_write_b128 v228, v[16:19] offset:14000
	s_mov_b32 s6, 0xd000
	s_waitcnt vmcnt(0) lgkmcnt(1)
	v_mul_f64 v[16:17], v[2:3], v[14:15]
	v_mul_f64 v[18:19], v[0:1], v[14:15]
	v_fma_f64 v[16:17], v[0:1], v[12:13], -v[16:17]
	v_fmac_f64_e32 v[18:19], v[2:3], v[12:13]
	global_load_dwordx4 v[12:15], v[22:23], off offset:2080
	ds_read_b128 v[0:3], v228 offset:34000
	ds_write_b128 v228, v[16:19] offset:24000
	s_waitcnt vmcnt(0) lgkmcnt(1)
	v_mul_f64 v[16:17], v[2:3], v[14:15]
	v_mul_f64 v[18:19], v[0:1], v[14:15]
	v_fma_f64 v[16:17], v[0:1], v[12:13], -v[16:17]
	v_fmac_f64_e32 v[18:19], v[2:3], v[12:13]
	global_load_dwordx4 v[12:15], v[24:25], off offset:3888
	ds_read_b128 v[0:3], v228 offset:44000
	ds_write_b128 v228, v[16:19] offset:34000
	s_waitcnt vmcnt(0) lgkmcnt(1)
	v_mul_f64 v[16:17], v[2:3], v[14:15]
	v_mul_f64 v[18:19], v[0:1], v[14:15]
	v_fma_f64 v[16:17], v[0:1], v[12:13], -v[16:17]
	v_fmac_f64_e32 v[18:19], v[2:3], v[12:13]
	v_add_co_u32_e32 v12, vcc, s6, v136
	ds_read_b128 v[0:3], v228 offset:6000
	s_nop 0
	v_addc_co_u32_e32 v13, vcc, 0, v137, vcc
	global_load_dwordx4 v[12:15], v[12:13], off offset:2752
	ds_write_b128 v228, v[16:19] offset:44000
	s_mov_b32 s6, 0x10000
	s_waitcnt vmcnt(0) lgkmcnt(1)
	v_mul_f64 v[16:17], v[2:3], v[14:15]
	v_mul_f64 v[18:19], v[0:1], v[14:15]
	v_fma_f64 v[16:17], v[0:1], v[12:13], -v[16:17]
	v_fmac_f64_e32 v[18:19], v[2:3], v[12:13]
	v_add_co_u32_e32 v12, vcc, s6, v136
	ds_write_b128 v228, v[16:19] offset:6000
	s_nop 0
	v_addc_co_u32_e32 v13, vcc, 0, v137, vcc
	global_load_dwordx4 v[14:17], v[12:13], off offset:464
	ds_read_b128 v[0:3], v228 offset:16000
	s_mov_b32 s6, 0x17000
	s_waitcnt vmcnt(0) lgkmcnt(0)
	v_mul_f64 v[18:19], v[2:3], v[16:17]
	v_mul_f64 v[20:21], v[0:1], v[16:17]
	v_fma_f64 v[18:19], v[0:1], v[14:15], -v[18:19]
	v_fmac_f64_e32 v[20:21], v[2:3], v[14:15]
	global_load_dwordx4 v[14:17], v[4:5], off offset:2272
	ds_read_b128 v[0:3], v228 offset:26000
	ds_write_b128 v228, v[18:21] offset:16000
	s_waitcnt vmcnt(0) lgkmcnt(1)
	v_mul_f64 v[4:5], v[2:3], v[16:17]
	v_mul_f64 v[20:21], v[0:1], v[16:17]
	v_fma_f64 v[18:19], v[0:1], v[14:15], -v[4:5]
	v_fmac_f64_e32 v[20:21], v[2:3], v[14:15]
	global_load_dwordx4 v[14:17], v[22:23], off offset:4080
	ds_read_b128 v[0:3], v228 offset:36000
	ds_write_b128 v228, v[18:21] offset:26000
	s_waitcnt vmcnt(0) lgkmcnt(1)
	v_mul_f64 v[4:5], v[2:3], v[16:17]
	v_fma_f64 v[18:19], v[0:1], v[14:15], -v[4:5]
	v_add_co_u32_e32 v4, vcc, s6, v136
	v_mul_f64 v[20:21], v[0:1], v[16:17]
	s_nop 0
	v_addc_co_u32_e32 v5, vcc, 0, v137, vcc
	v_fmac_f64_e32 v[20:21], v[2:3], v[14:15]
	global_load_dwordx4 v[14:17], v[4:5], off offset:1792
	ds_read_b128 v[0:3], v228 offset:46000
	ds_write_b128 v228, v[18:21] offset:36000
	s_waitcnt vmcnt(0) lgkmcnt(1)
	v_mul_f64 v[18:19], v[2:3], v[16:17]
	v_mul_f64 v[20:21], v[0:1], v[16:17]
	v_fma_f64 v[18:19], v[0:1], v[14:15], -v[18:19]
	v_fmac_f64_e32 v[20:21], v[2:3], v[14:15]
	global_load_dwordx4 v[14:17], v[10:11], off offset:656
	ds_read_b128 v[0:3], v228 offset:8000
	ds_write_b128 v228, v[18:21] offset:46000
	s_waitcnt vmcnt(0) lgkmcnt(1)
	v_mul_f64 v[10:11], v[2:3], v[16:17]
	v_fma_f64 v[18:19], v[0:1], v[14:15], -v[10:11]
	global_load_dwordx4 v[10:13], v[12:13], off offset:2464
	v_mul_f64 v[20:21], v[0:1], v[16:17]
	v_fmac_f64_e32 v[20:21], v[2:3], v[14:15]
	ds_read_b128 v[0:3], v228 offset:18000
	ds_write_b128 v228, v[18:21] offset:8000
	s_waitcnt vmcnt(0) lgkmcnt(1)
	v_mul_f64 v[14:15], v[2:3], v[12:13]
	v_mul_f64 v[16:17], v[0:1], v[12:13]
	v_fma_f64 v[14:15], v[0:1], v[10:11], -v[14:15]
	v_fmac_f64_e32 v[16:17], v[2:3], v[10:11]
	global_load_dwordx4 v[8:11], v[8:9], off offset:176
	ds_read_b128 v[0:3], v228 offset:28000
	ds_write_b128 v228, v[14:17] offset:18000
	s_waitcnt vmcnt(0) lgkmcnt(1)
	v_mul_f64 v[12:13], v[2:3], v[10:11]
	v_mul_f64 v[14:15], v[0:1], v[10:11]
	v_fma_f64 v[12:13], v[0:1], v[8:9], -v[12:13]
	v_fmac_f64_e32 v[14:15], v[2:3], v[8:9]
	global_load_dwordx4 v[6:9], v[6:7], off offset:1984
	;; [unrolled: 8-line block ×3, first 2 shown]
	ds_read_b128 v[0:3], v228 offset:48000
	ds_write_b128 v228, v[10:13] offset:38000
	s_waitcnt vmcnt(0) lgkmcnt(1)
	v_mul_f64 v[8:9], v[2:3], v[6:7]
	v_mul_f64 v[10:11], v[0:1], v[6:7]
	v_fma_f64 v[8:9], v[0:1], v[4:5], -v[8:9]
	v_fmac_f64_e32 v[10:11], v[2:3], v[4:5]
	ds_write_b128 v228, v[8:11] offset:48000
	s_waitcnt lgkmcnt(0)
	s_barrier
	ds_read_b128 v[16:19], v228
	ds_read_b128 v[76:79], v228 offset:10000
	ds_read_b128 v[108:111], v228 offset:20000
	;; [unrolled: 1-line block ×24, first 2 shown]
	s_waitcnt lgkmcnt(14)
	v_add_f64 v[36:37], v[16:17], v[76:77]
	v_add_f64 v[36:37], v[36:37], v[108:109]
	;; [unrolled: 1-line block ×5, first 2 shown]
	v_fma_f64 v[36:37], -0.5, v[36:37], v[16:17]
	v_add_f64 v[38:39], v[78:79], -v[74:75]
	v_fma_f64 v[44:45], s[12:13], v[38:39], v[36:37]
	v_add_f64 v[42:43], v[110:111], -v[62:63]
	v_add_f64 v[40:41], v[76:77], -v[108:109]
	;; [unrolled: 1-line block ×3, first 2 shown]
	v_fmac_f64_e32 v[36:37], s[2:3], v[38:39]
	v_fmac_f64_e32 v[44:45], s[10:11], v[42:43]
	v_add_f64 v[40:41], v[40:41], v[46:47]
	v_fmac_f64_e32 v[36:37], s[8:9], v[42:43]
	v_fmac_f64_e32 v[44:45], s[4:5], v[40:41]
	;; [unrolled: 1-line block ×3, first 2 shown]
	v_add_f64 v[40:41], v[76:77], v[72:73]
	v_fmac_f64_e32 v[16:17], -0.5, v[40:41]
	v_fma_f64 v[40:41], s[2:3], v[42:43], v[16:17]
	v_fmac_f64_e32 v[16:17], s[12:13], v[42:43]
	v_fmac_f64_e32 v[40:41], s[10:11], v[38:39]
	;; [unrolled: 1-line block ×3, first 2 shown]
	v_add_f64 v[38:39], v[18:19], v[78:79]
	v_add_f64 v[38:39], v[38:39], v[110:111]
	v_add_f64 v[46:47], v[108:109], -v[76:77]
	v_add_f64 v[114:115], v[60:61], -v[72:73]
	v_add_f64 v[38:39], v[38:39], v[62:63]
	v_add_f64 v[46:47], v[46:47], v[114:115]
	;; [unrolled: 1-line block ×4, first 2 shown]
	v_fma_f64 v[38:39], -0.5, v[38:39], v[18:19]
	v_add_f64 v[72:73], v[76:77], -v[72:73]
	v_fmac_f64_e32 v[40:41], s[4:5], v[46:47]
	v_fmac_f64_e32 v[16:17], s[4:5], v[46:47]
	v_fma_f64 v[46:47], s[2:3], v[72:73], v[38:39]
	v_add_f64 v[60:61], v[108:109], -v[60:61]
	v_add_f64 v[42:43], v[78:79], -v[110:111]
	v_add_f64 v[76:77], v[74:75], -v[62:63]
	v_fmac_f64_e32 v[38:39], s[12:13], v[72:73]
	v_fmac_f64_e32 v[46:47], s[8:9], v[60:61]
	v_add_f64 v[42:43], v[42:43], v[76:77]
	v_fmac_f64_e32 v[38:39], s[10:11], v[60:61]
	v_fmac_f64_e32 v[46:47], s[4:5], v[42:43]
	;; [unrolled: 1-line block ×3, first 2 shown]
	v_add_f64 v[42:43], v[78:79], v[74:75]
	v_fmac_f64_e32 v[18:19], -0.5, v[42:43]
	v_fma_f64 v[42:43], s[12:13], v[60:61], v[18:19]
	v_fmac_f64_e32 v[18:19], s[2:3], v[60:61]
	v_add_f64 v[60:61], v[12:13], v[92:93]
	v_add_f64 v[60:61], v[60:61], v[104:105]
	v_add_f64 v[76:77], v[110:111], -v[78:79]
	v_add_f64 v[62:63], v[62:63], -v[74:75]
	v_add_f64 v[60:61], v[60:61], v[84:85]
	v_fmac_f64_e32 v[42:43], s[8:9], v[72:73]
	v_add_f64 v[62:63], v[76:77], v[62:63]
	v_fmac_f64_e32 v[18:19], s[10:11], v[72:73]
	v_add_f64 v[108:109], v[60:61], v[88:89]
	v_add_f64 v[60:61], v[104:105], v[84:85]
	v_fmac_f64_e32 v[42:43], s[4:5], v[62:63]
	v_fmac_f64_e32 v[18:19], s[4:5], v[62:63]
	v_fma_f64 v[60:61], -0.5, v[60:61], v[12:13]
	v_add_f64 v[62:63], v[94:95], -v[90:91]
	v_fma_f64 v[76:77], s[12:13], v[62:63], v[60:61]
	v_add_f64 v[74:75], v[106:107], -v[86:87]
	v_add_f64 v[72:73], v[92:93], -v[104:105]
	v_add_f64 v[78:79], v[88:89], -v[84:85]
	v_fmac_f64_e32 v[60:61], s[2:3], v[62:63]
	v_fmac_f64_e32 v[76:77], s[10:11], v[74:75]
	v_add_f64 v[72:73], v[72:73], v[78:79]
	v_fmac_f64_e32 v[60:61], s[8:9], v[74:75]
	v_fmac_f64_e32 v[76:77], s[4:5], v[72:73]
	v_fmac_f64_e32 v[60:61], s[4:5], v[72:73]
	v_add_f64 v[72:73], v[92:93], v[88:89]
	v_fmac_f64_e32 v[12:13], -0.5, v[72:73]
	v_fma_f64 v[72:73], s[2:3], v[74:75], v[12:13]
	v_fmac_f64_e32 v[12:13], s[12:13], v[74:75]
	v_fmac_f64_e32 v[72:73], s[10:11], v[62:63]
	v_fmac_f64_e32 v[12:13], s[8:9], v[62:63]
	v_add_f64 v[62:63], v[14:15], v[94:95]
	v_add_f64 v[62:63], v[62:63], v[106:107]
	v_add_f64 v[78:79], v[104:105], -v[92:93]
	v_add_f64 v[110:111], v[84:85], -v[88:89]
	v_add_f64 v[62:63], v[62:63], v[86:87]
	v_add_f64 v[78:79], v[78:79], v[110:111]
	v_add_f64 v[110:111], v[62:63], v[90:91]
	v_add_f64 v[62:63], v[106:107], v[86:87]
	v_fma_f64 v[62:63], -0.5, v[62:63], v[14:15]
	v_add_f64 v[88:89], v[92:93], -v[88:89]
	v_fmac_f64_e32 v[72:73], s[4:5], v[78:79]
	v_fmac_f64_e32 v[12:13], s[4:5], v[78:79]
	v_fma_f64 v[78:79], s[2:3], v[88:89], v[62:63]
	v_add_f64 v[84:85], v[104:105], -v[84:85]
	v_add_f64 v[74:75], v[94:95], -v[106:107]
	v_add_f64 v[92:93], v[90:91], -v[86:87]
	v_fmac_f64_e32 v[62:63], s[12:13], v[88:89]
	v_fmac_f64_e32 v[78:79], s[8:9], v[84:85]
	v_add_f64 v[74:75], v[74:75], v[92:93]
	v_fmac_f64_e32 v[62:63], s[10:11], v[84:85]
	v_fmac_f64_e32 v[78:79], s[4:5], v[74:75]
	v_fmac_f64_e32 v[62:63], s[4:5], v[74:75]
	v_add_f64 v[74:75], v[94:95], v[90:91]
	v_fmac_f64_e32 v[14:15], -0.5, v[74:75]
	v_fma_f64 v[74:75], s[12:13], v[84:85], v[14:15]
	v_fmac_f64_e32 v[14:15], s[2:3], v[84:85]
	s_waitcnt lgkmcnt(13)
	v_add_f64 v[84:85], v[8:9], v[24:25]
	s_waitcnt lgkmcnt(12)
	v_add_f64 v[84:85], v[84:85], v[20:21]
	v_add_f64 v[92:93], v[106:107], -v[94:95]
	v_add_f64 v[86:87], v[86:87], -v[90:91]
	s_waitcnt lgkmcnt(11)
	v_add_f64 v[84:85], v[84:85], v[96:97]
	v_fmac_f64_e32 v[74:75], s[8:9], v[88:89]
	v_add_f64 v[86:87], v[92:93], v[86:87]
	v_fmac_f64_e32 v[14:15], s[10:11], v[88:89]
	s_waitcnt lgkmcnt(10)
	v_add_f64 v[104:105], v[84:85], v[28:29]
	v_add_f64 v[84:85], v[20:21], v[96:97]
	v_fmac_f64_e32 v[74:75], s[4:5], v[86:87]
	v_fmac_f64_e32 v[14:15], s[4:5], v[86:87]
	v_fma_f64 v[84:85], -0.5, v[84:85], v[8:9]
	v_add_f64 v[86:87], v[26:27], -v[30:31]
	v_fma_f64 v[92:93], s[12:13], v[86:87], v[84:85]
	v_add_f64 v[90:91], v[22:23], -v[98:99]
	v_add_f64 v[88:89], v[24:25], -v[20:21]
	v_add_f64 v[94:95], v[28:29], -v[96:97]
	v_fmac_f64_e32 v[84:85], s[2:3], v[86:87]
	v_fmac_f64_e32 v[92:93], s[10:11], v[90:91]
	v_add_f64 v[88:89], v[88:89], v[94:95]
	v_fmac_f64_e32 v[84:85], s[8:9], v[90:91]
	v_fmac_f64_e32 v[92:93], s[4:5], v[88:89]
	v_fmac_f64_e32 v[84:85], s[4:5], v[88:89]
	v_add_f64 v[88:89], v[24:25], v[28:29]
	v_fmac_f64_e32 v[8:9], -0.5, v[88:89]
	v_fma_f64 v[88:89], s[2:3], v[90:91], v[8:9]
	v_fmac_f64_e32 v[8:9], s[12:13], v[90:91]
	v_fmac_f64_e32 v[88:89], s[10:11], v[86:87]
	v_fmac_f64_e32 v[8:9], s[8:9], v[86:87]
	v_add_f64 v[86:87], v[10:11], v[26:27]
	v_add_f64 v[86:87], v[86:87], v[22:23]
	v_add_f64 v[94:95], v[20:21], -v[24:25]
	v_add_f64 v[106:107], v[96:97], -v[28:29]
	v_add_f64 v[86:87], v[86:87], v[98:99]
	v_add_f64 v[94:95], v[94:95], v[106:107]
	v_add_f64 v[106:107], v[86:87], v[30:31]
	v_add_f64 v[86:87], v[22:23], v[98:99]
	v_fma_f64 v[86:87], -0.5, v[86:87], v[10:11]
	v_add_f64 v[24:25], v[24:25], -v[28:29]
	v_fmac_f64_e32 v[88:89], s[4:5], v[94:95]
	v_fmac_f64_e32 v[8:9], s[4:5], v[94:95]
	v_fma_f64 v[94:95], s[2:3], v[24:25], v[86:87]
	v_add_f64 v[20:21], v[20:21], -v[96:97]
	v_add_f64 v[28:29], v[26:27], -v[22:23]
	v_add_f64 v[90:91], v[30:31], -v[98:99]
	v_fmac_f64_e32 v[86:87], s[12:13], v[24:25]
	v_fmac_f64_e32 v[94:95], s[8:9], v[20:21]
	v_add_f64 v[28:29], v[28:29], v[90:91]
	v_fmac_f64_e32 v[86:87], s[10:11], v[20:21]
	v_fmac_f64_e32 v[94:95], s[4:5], v[28:29]
	v_fmac_f64_e32 v[86:87], s[4:5], v[28:29]
	v_add_f64 v[28:29], v[26:27], v[30:31]
	v_fmac_f64_e32 v[10:11], -0.5, v[28:29]
	v_fma_f64 v[90:91], s[12:13], v[20:21], v[10:11]
	v_fmac_f64_e32 v[10:11], s[2:3], v[20:21]
	s_waitcnt lgkmcnt(8)
	v_add_f64 v[20:21], v[4:5], v[64:65]
	s_waitcnt lgkmcnt(7)
	v_add_f64 v[20:21], v[20:21], v[68:69]
	v_add_f64 v[22:23], v[22:23], -v[26:27]
	v_add_f64 v[26:27], v[98:99], -v[30:31]
	s_waitcnt lgkmcnt(6)
	v_add_f64 v[20:21], v[20:21], v[52:53]
	v_fmac_f64_e32 v[90:91], s[8:9], v[24:25]
	v_add_f64 v[22:23], v[22:23], v[26:27]
	v_fmac_f64_e32 v[10:11], s[10:11], v[24:25]
	s_waitcnt lgkmcnt(5)
	;; [unrolled: 60-line block ×3, first 2 shown]
	v_add_f64 v[68:69], v[52:53], v[80:81]
	v_add_f64 v[52:53], v[32:33], v[100:101]
	v_fmac_f64_e32 v[26:27], s[4:5], v[54:55]
	v_fmac_f64_e32 v[6:7], s[4:5], v[54:55]
	v_fma_f64 v[52:53], -0.5, v[52:53], v[0:1]
	v_add_f64 v[54:55], v[50:51], -v[82:83]
	v_fma_f64 v[64:65], s[12:13], v[54:55], v[52:53]
	v_add_f64 v[58:59], v[34:35], -v[102:103]
	v_add_f64 v[56:57], v[48:49], -v[32:33]
	v_add_f64 v[66:67], v[80:81], -v[100:101]
	v_fmac_f64_e32 v[52:53], s[2:3], v[54:55]
	v_fmac_f64_e32 v[64:65], s[10:11], v[58:59]
	v_add_f64 v[56:57], v[56:57], v[66:67]
	v_fmac_f64_e32 v[52:53], s[8:9], v[58:59]
	v_fmac_f64_e32 v[64:65], s[4:5], v[56:57]
	;; [unrolled: 1-line block ×3, first 2 shown]
	v_add_f64 v[56:57], v[48:49], v[80:81]
	v_fmac_f64_e32 v[0:1], -0.5, v[56:57]
	v_fma_f64 v[56:57], s[2:3], v[58:59], v[0:1]
	v_fmac_f64_e32 v[0:1], s[12:13], v[58:59]
	v_fmac_f64_e32 v[56:57], s[10:11], v[54:55]
	v_fmac_f64_e32 v[0:1], s[8:9], v[54:55]
	v_add_f64 v[54:55], v[2:3], v[50:51]
	v_add_f64 v[54:55], v[54:55], v[34:35]
	v_add_f64 v[66:67], v[32:33], -v[48:49]
	v_add_f64 v[70:71], v[100:101], -v[80:81]
	v_add_f64 v[54:55], v[54:55], v[102:103]
	v_add_f64 v[66:67], v[66:67], v[70:71]
	;; [unrolled: 1-line block ×4, first 2 shown]
	v_fma_f64 v[54:55], -0.5, v[54:55], v[2:3]
	v_add_f64 v[48:49], v[48:49], -v[80:81]
	v_fmac_f64_e32 v[56:57], s[4:5], v[66:67]
	v_fmac_f64_e32 v[0:1], s[4:5], v[66:67]
	v_fma_f64 v[66:67], s[2:3], v[48:49], v[54:55]
	v_add_f64 v[32:33], v[32:33], -v[100:101]
	v_add_f64 v[58:59], v[50:51], -v[34:35]
	;; [unrolled: 1-line block ×3, first 2 shown]
	v_fmac_f64_e32 v[54:55], s[12:13], v[48:49]
	v_fmac_f64_e32 v[66:67], s[8:9], v[32:33]
	v_add_f64 v[58:59], v[58:59], v[80:81]
	v_fmac_f64_e32 v[54:55], s[10:11], v[32:33]
	v_fmac_f64_e32 v[66:67], s[4:5], v[58:59]
	v_fmac_f64_e32 v[54:55], s[4:5], v[58:59]
	v_add_f64 v[58:59], v[50:51], v[82:83]
	v_fmac_f64_e32 v[2:3], -0.5, v[58:59]
	v_fma_f64 v[58:59], s[12:13], v[32:33], v[2:3]
	v_add_f64 v[34:35], v[34:35], -v[50:51]
	v_add_f64 v[50:51], v[102:103], -v[82:83]
	v_fmac_f64_e32 v[2:3], s[2:3], v[32:33]
	v_fmac_f64_e32 v[58:59], s[8:9], v[48:49]
	v_add_f64 v[34:35], v[34:35], v[50:51]
	v_fmac_f64_e32 v[2:3], s[10:11], v[48:49]
	v_fmac_f64_e32 v[58:59], s[4:5], v[34:35]
	;; [unrolled: 1-line block ×3, first 2 shown]
	s_barrier
	ds_write_b128 v236, v[112:115]
	ds_write_b128 v236, v[44:47] offset:16
	ds_write_b128 v236, v[40:43] offset:32
	ds_write_b128 v236, v[16:19] offset:48
	ds_write_b128 v236, v[36:39] offset:64
	ds_write_b128 v235, v[108:111]
	ds_write_b128 v235, v[76:79] offset:16
	ds_write_b128 v235, v[72:75] offset:32
	ds_write_b128 v235, v[12:15] offset:48
	ds_write_b128 v235, v[60:63] offset:64
	;; [unrolled: 5-line block ×5, first 2 shown]
	s_waitcnt lgkmcnt(0)
	s_barrier
	ds_read_b128 v[20:23], v228
	ds_read_b128 v[96:99], v228 offset:10000
	ds_read_b128 v[92:95], v228 offset:20000
	;; [unrolled: 1-line block ×24, first 2 shown]
	s_waitcnt lgkmcnt(14)
	v_mul_f64 v[236:237], v[242:243], v[94:95]
	v_fmac_f64_e32 v[236:237], v[240:241], v[92:93]
	v_mul_f64 v[92:93], v[242:243], v[92:93]
	v_fma_f64 v[240:241], v[240:241], v[94:95], -v[92:93]
	v_accvgpr_read_b32 v92, a108
	v_accvgpr_read_b32 v94, a110
	v_accvgpr_read_b32 v95, a111
	v_accvgpr_read_b32 v93, a109
	v_mul_f64 v[234:235], v[94:95], v[90:91]
	v_fmac_f64_e32 v[234:235], v[92:93], v[88:89]
	v_mul_f64 v[88:89], v[94:95], v[88:89]
	v_fma_f64 v[88:89], v[92:93], v[90:91], -v[88:89]
	v_accvgpr_read_b32 v90, a104
	v_accvgpr_read_b32 v92, a106
	v_accvgpr_read_b32 v93, a107
	v_accvgpr_read_b32 v91, a105
	;; [unrolled: 8-line block ×7, first 2 shown]
	s_waitcnt lgkmcnt(13)
	v_mul_f64 v[122:123], v[70:71], v[66:67]
	v_fmac_f64_e32 v[122:123], v[68:69], v[64:65]
	v_mul_f64 v[64:65], v[70:71], v[64:65]
	v_fma_f64 v[114:115], v[68:69], v[66:67], -v[64:65]
	v_accvgpr_read_b32 v64, a144
	v_accvgpr_read_b32 v66, a146
	v_accvgpr_read_b32 v67, a147
	v_accvgpr_read_b32 v65, a145
	s_waitcnt lgkmcnt(12)
	v_mul_f64 v[124:125], v[66:67], v[62:63]
	v_fmac_f64_e32 v[124:125], v[64:65], v[60:61]
	v_mul_f64 v[60:61], v[66:67], v[60:61]
	v_fma_f64 v[120:121], v[64:65], v[62:63], -v[60:61]
	v_accvgpr_read_b32 v60, a140
	v_accvgpr_read_b32 v62, a142
	v_accvgpr_read_b32 v63, a143
	v_accvgpr_read_b32 v61, a141
	;; [unrolled: 9-line block ×6, first 2 shown]
	v_accvgpr_read_b32 v41, a157
	s_waitcnt lgkmcnt(6)
	v_mul_f64 v[116:117], v[42:43], v[34:35]
	v_accvgpr_read_b32 v50, a162
	v_accvgpr_read_b32 v51, a163
	v_fmac_f64_e32 v[116:117], v[40:41], v[32:33]
	v_mul_f64 v[32:33], v[42:43], v[32:33]
	v_accvgpr_read_b32 v49, a161
	s_waitcnt lgkmcnt(5)
	v_mul_f64 v[42:43], v[50:51], v[26:27]
	v_accvgpr_read_b32 v100, a112
	v_fmac_f64_e32 v[42:43], v[48:49], v[24:25]
	v_mul_f64 v[24:25], v[50:51], v[24:25]
	v_accvgpr_read_b32 v102, a114
	v_accvgpr_read_b32 v103, a115
	v_fma_f64 v[118:119], v[48:49], v[26:27], -v[24:25]
	v_accvgpr_read_b32 v48, a164
	v_accvgpr_read_b32 v101, a113
	v_mul_f64 v[238:239], v[102:103], v[98:99]
	v_accvgpr_read_b32 v50, a166
	v_accvgpr_read_b32 v51, a167
	v_fmac_f64_e32 v[238:239], v[100:101], v[96:97]
	v_mul_f64 v[96:97], v[102:103], v[96:97]
	v_fma_f64 v[32:33], v[40:41], v[34:35], -v[32:33]
	v_accvgpr_read_b32 v49, a165
	s_waitcnt lgkmcnt(3)
	v_mul_f64 v[34:35], v[50:51], v[46:47]
	v_mul_f64 v[24:25], v[50:51], v[44:45]
	v_fma_f64 v[248:249], v[100:101], v[98:99], -v[96:97]
	v_fmac_f64_e32 v[34:35], v[48:49], v[44:45]
	v_fma_f64 v[96:97], v[48:49], v[46:47], -v[24:25]
	v_accvgpr_read_b32 v44, a168
	v_accvgpr_read_b32 v46, a170
	;; [unrolled: 1-line block ×4, first 2 shown]
	s_waitcnt lgkmcnt(2)
	v_mul_f64 v[102:103], v[46:47], v[38:39]
	v_mul_f64 v[24:25], v[46:47], v[36:37]
	v_fmac_f64_e32 v[102:103], v[44:45], v[36:37]
	v_fma_f64 v[98:99], v[44:45], v[38:39], -v[24:25]
	v_accvgpr_read_b32 v36, a172
	v_accvgpr_read_b32 v38, a174
	;; [unrolled: 1-line block ×4, first 2 shown]
	s_waitcnt lgkmcnt(1)
	v_mul_f64 v[24:25], v[38:39], v[28:29]
	v_fma_f64 v[100:101], v[36:37], v[30:31], -v[24:25]
	v_accvgpr_read_b32 v24, a176
	v_accvgpr_read_b32 v26, a178
	;; [unrolled: 1-line block ×4, first 2 shown]
	s_waitcnt lgkmcnt(0)
	v_mul_f64 v[108:109], v[26:27], v[18:19]
	v_fmac_f64_e32 v[108:109], v[24:25], v[16:17]
	v_mul_f64 v[16:17], v[26:27], v[16:17]
	v_fma_f64 v[104:105], v[24:25], v[18:19], -v[16:17]
	v_add_f64 v[16:17], v[20:21], v[238:239]
	v_add_f64 v[16:17], v[16:17], v[236:237]
	;; [unrolled: 1-line block ×5, first 2 shown]
	v_fma_f64 v[68:69], -0.5, v[16:17], v[20:21]
	v_add_f64 v[16:17], v[248:249], -v[90:91]
	v_fma_f64 v[84:85], s[12:13], v[16:17], v[68:69]
	v_add_f64 v[18:19], v[240:241], -v[88:89]
	v_add_f64 v[24:25], v[238:239], -v[236:237]
	;; [unrolled: 1-line block ×3, first 2 shown]
	v_fmac_f64_e32 v[68:69], s[2:3], v[16:17]
	v_fmac_f64_e32 v[84:85], s[10:11], v[18:19]
	v_add_f64 v[24:25], v[24:25], v[26:27]
	v_fmac_f64_e32 v[68:69], s[8:9], v[18:19]
	v_fmac_f64_e32 v[84:85], s[4:5], v[24:25]
	;; [unrolled: 1-line block ×3, first 2 shown]
	v_add_f64 v[24:25], v[238:239], v[232:233]
	v_fmac_f64_e32 v[20:21], -0.5, v[24:25]
	v_fma_f64 v[76:77], s[2:3], v[18:19], v[20:21]
	v_fmac_f64_e32 v[20:21], s[12:13], v[18:19]
	v_fmac_f64_e32 v[76:77], s[10:11], v[16:17]
	v_fmac_f64_e32 v[20:21], s[8:9], v[16:17]
	v_add_f64 v[16:17], v[22:23], v[248:249]
	v_add_f64 v[16:17], v[16:17], v[240:241]
	;; [unrolled: 1-line block ×3, first 2 shown]
	v_add_f64 v[24:25], v[236:237], -v[238:239]
	v_add_f64 v[26:27], v[234:235], -v[232:233]
	v_add_f64 v[94:95], v[16:17], v[90:91]
	v_add_f64 v[16:17], v[240:241], v[88:89]
	;; [unrolled: 1-line block ×3, first 2 shown]
	v_fma_f64 v[70:71], -0.5, v[16:17], v[22:23]
	v_add_f64 v[16:17], v[238:239], -v[232:233]
	v_fmac_f64_e32 v[76:77], s[4:5], v[24:25]
	v_fmac_f64_e32 v[20:21], s[4:5], v[24:25]
	v_fma_f64 v[86:87], s[2:3], v[16:17], v[70:71]
	v_add_f64 v[18:19], v[236:237], -v[234:235]
	v_add_f64 v[24:25], v[248:249], -v[240:241]
	v_add_f64 v[26:27], v[90:91], -v[88:89]
	v_fmac_f64_e32 v[70:71], s[12:13], v[16:17]
	v_fmac_f64_e32 v[86:87], s[8:9], v[18:19]
	v_add_f64 v[24:25], v[24:25], v[26:27]
	v_fmac_f64_e32 v[70:71], s[10:11], v[18:19]
	v_fmac_f64_e32 v[86:87], s[4:5], v[24:25]
	;; [unrolled: 1-line block ×3, first 2 shown]
	v_add_f64 v[24:25], v[248:249], v[90:91]
	v_fmac_f64_e32 v[22:23], -0.5, v[24:25]
	v_fma_f64 v[78:79], s[12:13], v[18:19], v[22:23]
	v_fmac_f64_e32 v[22:23], s[2:3], v[18:19]
	v_fmac_f64_e32 v[78:79], s[8:9], v[16:17]
	;; [unrolled: 1-line block ×3, first 2 shown]
	v_add_f64 v[16:17], v[12:13], v[136:137]
	v_add_f64 v[16:17], v[16:17], v[174:175]
	;; [unrolled: 1-line block ×3, first 2 shown]
	v_add_f64 v[24:25], v[240:241], -v[248:249]
	v_add_f64 v[26:27], v[88:89], -v[90:91]
	v_add_f64 v[88:89], v[16:17], v[74:75]
	v_add_f64 v[16:17], v[174:175], v[250:251]
	v_mul_f64 v[106:107], v[38:39], v[30:31]
	v_add_f64 v[24:25], v[24:25], v[26:27]
	v_fma_f64 v[60:61], -0.5, v[16:17], v[12:13]
	v_add_f64 v[16:17], v[130:131], -v[242:243]
	v_fmac_f64_e32 v[106:107], v[36:37], v[28:29]
	v_fmac_f64_e32 v[78:79], s[4:5], v[24:25]
	;; [unrolled: 1-line block ×3, first 2 shown]
	v_fma_f64 v[24:25], s[12:13], v[16:17], v[60:61]
	v_add_f64 v[18:19], v[134:135], -v[172:173]
	v_add_f64 v[26:27], v[136:137], -v[174:175]
	v_add_f64 v[28:29], v[74:75], -v[250:251]
	v_fmac_f64_e32 v[60:61], s[2:3], v[16:17]
	v_fmac_f64_e32 v[24:25], s[10:11], v[18:19]
	v_add_f64 v[26:27], v[26:27], v[28:29]
	v_fmac_f64_e32 v[60:61], s[8:9], v[18:19]
	v_fmac_f64_e32 v[24:25], s[4:5], v[26:27]
	v_fmac_f64_e32 v[60:61], s[4:5], v[26:27]
	v_add_f64 v[26:27], v[136:137], v[74:75]
	v_fmac_f64_e32 v[12:13], -0.5, v[26:27]
	v_fma_f64 v[72:73], s[2:3], v[18:19], v[12:13]
	v_fmac_f64_e32 v[12:13], s[12:13], v[18:19]
	v_fmac_f64_e32 v[72:73], s[10:11], v[16:17]
	v_fmac_f64_e32 v[12:13], s[8:9], v[16:17]
	v_add_f64 v[16:17], v[14:15], v[130:131]
	v_add_f64 v[16:17], v[16:17], v[134:135]
	v_add_f64 v[16:17], v[16:17], v[172:173]
	v_add_f64 v[26:27], v[174:175], -v[136:137]
	v_add_f64 v[28:29], v[250:251], -v[74:75]
	v_add_f64 v[90:91], v[16:17], v[242:243]
	v_add_f64 v[16:17], v[134:135], v[172:173]
	v_add_f64 v[26:27], v[26:27], v[28:29]
	v_fma_f64 v[62:63], -0.5, v[16:17], v[14:15]
	v_add_f64 v[16:17], v[136:137], -v[74:75]
	v_fmac_f64_e32 v[72:73], s[4:5], v[26:27]
	v_fmac_f64_e32 v[12:13], s[4:5], v[26:27]
	v_fma_f64 v[26:27], s[2:3], v[16:17], v[62:63]
	v_add_f64 v[18:19], v[174:175], -v[250:251]
	v_add_f64 v[28:29], v[130:131], -v[134:135]
	v_add_f64 v[30:31], v[242:243], -v[172:173]
	v_fmac_f64_e32 v[62:63], s[12:13], v[16:17]
	v_fmac_f64_e32 v[26:27], s[8:9], v[18:19]
	v_add_f64 v[28:29], v[28:29], v[30:31]
	v_fmac_f64_e32 v[62:63], s[10:11], v[18:19]
	v_fmac_f64_e32 v[26:27], s[4:5], v[28:29]
	v_fmac_f64_e32 v[62:63], s[4:5], v[28:29]
	v_add_f64 v[28:29], v[130:131], v[242:243]
	v_fmac_f64_e32 v[14:15], -0.5, v[28:29]
	v_fma_f64 v[74:75], s[12:13], v[18:19], v[14:15]
	v_fmac_f64_e32 v[14:15], s[2:3], v[18:19]
	v_fmac_f64_e32 v[74:75], s[8:9], v[16:17]
	v_fmac_f64_e32 v[14:15], s[10:11], v[16:17]
	v_add_f64 v[16:17], v[8:9], v[122:123]
	v_add_f64 v[16:17], v[16:17], v[124:125]
	v_add_f64 v[16:17], v[16:17], v[132:133]
	v_add_f64 v[28:29], v[134:135], -v[130:131]
	v_add_f64 v[30:31], v[172:173], -v[242:243]
	v_add_f64 v[64:65], v[16:17], v[58:59]
	v_add_f64 v[16:17], v[124:125], v[132:133]
	v_add_f64 v[28:29], v[28:29], v[30:31]
	v_fma_f64 v[44:45], -0.5, v[16:17], v[8:9]
	v_add_f64 v[16:17], v[114:115], -v[128:129]
	v_fmac_f64_e32 v[74:75], s[4:5], v[28:29]
	v_fmac_f64_e32 v[14:15], s[4:5], v[28:29]
	;; [unrolled: 28-line block ×3, first 2 shown]
	v_fma_f64 v[58:59], s[2:3], v[16:17], v[46:47]
	v_add_f64 v[18:19], v[124:125], -v[132:133]
	v_add_f64 v[28:29], v[114:115], -v[120:121]
	;; [unrolled: 1-line block ×3, first 2 shown]
	v_fmac_f64_e32 v[46:47], s[12:13], v[16:17]
	v_fmac_f64_e32 v[58:59], s[8:9], v[18:19]
	v_add_f64 v[28:29], v[28:29], v[30:31]
	v_fmac_f64_e32 v[46:47], s[10:11], v[18:19]
	v_fmac_f64_e32 v[58:59], s[4:5], v[28:29]
	;; [unrolled: 1-line block ×3, first 2 shown]
	v_add_f64 v[28:29], v[114:115], v[128:129]
	v_fmac_f64_e32 v[10:11], -0.5, v[28:29]
	v_fma_f64 v[54:55], s[12:13], v[18:19], v[10:11]
	v_fmac_f64_e32 v[10:11], s[2:3], v[18:19]
	v_fmac_f64_e32 v[54:55], s[8:9], v[16:17]
	v_fmac_f64_e32 v[10:11], s[10:11], v[16:17]
	v_add_f64 v[16:17], v[4:5], v[110:111]
	v_add_f64 v[16:17], v[16:17], v[112:113]
	v_add_f64 v[28:29], v[120:121], -v[114:115]
	v_add_f64 v[30:31], v[126:127], -v[128:129]
	v_add_f64 v[16:17], v[16:17], v[116:117]
	v_add_f64 v[28:29], v[28:29], v[30:31]
	;; [unrolled: 1-line block ×4, first 2 shown]
	v_fmac_f64_e32 v[54:55], s[4:5], v[28:29]
	v_fmac_f64_e32 v[10:11], s[4:5], v[28:29]
	v_fma_f64 v[28:29], -0.5, v[16:17], v[4:5]
	v_add_f64 v[16:17], v[80:81], -v[118:119]
	v_fma_f64 v[40:41], s[12:13], v[16:17], v[28:29]
	v_add_f64 v[18:19], v[82:83], -v[32:33]
	v_add_f64 v[30:31], v[110:111], -v[112:113]
	;; [unrolled: 1-line block ×3, first 2 shown]
	v_fmac_f64_e32 v[28:29], s[2:3], v[16:17]
	v_fmac_f64_e32 v[40:41], s[10:11], v[18:19]
	v_add_f64 v[30:31], v[30:31], v[36:37]
	v_fmac_f64_e32 v[28:29], s[8:9], v[18:19]
	v_fmac_f64_e32 v[40:41], s[4:5], v[30:31]
	;; [unrolled: 1-line block ×3, first 2 shown]
	v_add_f64 v[30:31], v[110:111], v[42:43]
	v_fmac_f64_e32 v[4:5], -0.5, v[30:31]
	v_fma_f64 v[36:37], s[2:3], v[18:19], v[4:5]
	v_fmac_f64_e32 v[4:5], s[12:13], v[18:19]
	v_fmac_f64_e32 v[36:37], s[10:11], v[16:17]
	v_fmac_f64_e32 v[4:5], s[8:9], v[16:17]
	v_add_f64 v[16:17], v[6:7], v[80:81]
	v_add_f64 v[16:17], v[16:17], v[82:83]
	v_add_f64 v[30:31], v[112:113], -v[110:111]
	v_add_f64 v[38:39], v[116:117], -v[42:43]
	v_add_f64 v[16:17], v[16:17], v[32:33]
	v_add_f64 v[30:31], v[30:31], v[38:39]
	;; [unrolled: 1-line block ×4, first 2 shown]
	v_fmac_f64_e32 v[36:37], s[4:5], v[30:31]
	v_fmac_f64_e32 v[4:5], s[4:5], v[30:31]
	v_fma_f64 v[30:31], -0.5, v[16:17], v[6:7]
	v_add_f64 v[16:17], v[110:111], -v[42:43]
	v_fma_f64 v[42:43], s[2:3], v[16:17], v[30:31]
	v_add_f64 v[18:19], v[112:113], -v[116:117]
	v_add_f64 v[38:39], v[80:81], -v[82:83]
	;; [unrolled: 1-line block ×3, first 2 shown]
	v_fmac_f64_e32 v[30:31], s[12:13], v[16:17]
	v_fmac_f64_e32 v[42:43], s[8:9], v[18:19]
	v_add_f64 v[38:39], v[38:39], v[110:111]
	v_fmac_f64_e32 v[30:31], s[10:11], v[18:19]
	v_fmac_f64_e32 v[42:43], s[4:5], v[38:39]
	;; [unrolled: 1-line block ×3, first 2 shown]
	v_add_f64 v[38:39], v[80:81], v[118:119]
	v_fmac_f64_e32 v[6:7], -0.5, v[38:39]
	v_fma_f64 v[38:39], s[12:13], v[18:19], v[6:7]
	v_fmac_f64_e32 v[6:7], s[2:3], v[18:19]
	v_fmac_f64_e32 v[38:39], s[8:9], v[16:17]
	;; [unrolled: 1-line block ×3, first 2 shown]
	v_add_f64 v[16:17], v[0:1], v[34:35]
	v_add_f64 v[16:17], v[16:17], v[102:103]
	v_add_f64 v[80:81], v[82:83], -v[80:81]
	v_add_f64 v[32:33], v[32:33], -v[118:119]
	v_add_f64 v[16:17], v[16:17], v[106:107]
	v_add_f64 v[32:33], v[80:81], v[32:33]
	;; [unrolled: 1-line block ×4, first 2 shown]
	v_fma_f64 v[16:17], -0.5, v[16:17], v[0:1]
	v_add_f64 v[18:19], v[96:97], -v[104:105]
	v_fmac_f64_e32 v[38:39], s[4:5], v[32:33]
	v_fmac_f64_e32 v[6:7], s[4:5], v[32:33]
	v_fma_f64 v[32:33], s[12:13], v[18:19], v[16:17]
	v_add_f64 v[82:83], v[98:99], -v[100:101]
	v_add_f64 v[110:111], v[34:35], -v[102:103]
	;; [unrolled: 1-line block ×3, first 2 shown]
	v_fmac_f64_e32 v[16:17], s[2:3], v[18:19]
	v_fmac_f64_e32 v[32:33], s[10:11], v[82:83]
	v_add_f64 v[110:111], v[110:111], v[112:113]
	v_fmac_f64_e32 v[16:17], s[8:9], v[82:83]
	v_fmac_f64_e32 v[32:33], s[4:5], v[110:111]
	;; [unrolled: 1-line block ×3, first 2 shown]
	v_add_f64 v[110:111], v[34:35], v[108:109]
	v_fmac_f64_e32 v[0:1], -0.5, v[110:111]
	v_fma_f64 v[172:173], s[2:3], v[82:83], v[0:1]
	v_fmac_f64_e32 v[0:1], s[12:13], v[82:83]
	v_fmac_f64_e32 v[172:173], s[10:11], v[18:19]
	;; [unrolled: 1-line block ×3, first 2 shown]
	v_add_f64 v[18:19], v[2:3], v[96:97]
	v_add_f64 v[18:19], v[18:19], v[98:99]
	;; [unrolled: 1-line block ×3, first 2 shown]
	v_add_f64 v[110:111], v[102:103], -v[34:35]
	v_add_f64 v[112:113], v[106:107], -v[108:109]
	v_add_f64 v[82:83], v[18:19], v[104:105]
	v_add_f64 v[18:19], v[98:99], v[100:101]
	v_add_f64 v[110:111], v[110:111], v[112:113]
	v_fma_f64 v[18:19], -0.5, v[18:19], v[2:3]
	v_add_f64 v[108:109], v[34:35], -v[108:109]
	v_fmac_f64_e32 v[172:173], s[4:5], v[110:111]
	v_fmac_f64_e32 v[0:1], s[4:5], v[110:111]
	v_fma_f64 v[34:35], s[2:3], v[108:109], v[18:19]
	v_add_f64 v[102:103], v[102:103], -v[106:107]
	v_add_f64 v[106:107], v[96:97], -v[98:99]
	v_add_f64 v[110:111], v[104:105], -v[100:101]
	v_fmac_f64_e32 v[18:19], s[12:13], v[108:109]
	v_fmac_f64_e32 v[34:35], s[8:9], v[102:103]
	v_add_f64 v[106:107], v[106:107], v[110:111]
	v_fmac_f64_e32 v[18:19], s[10:11], v[102:103]
	v_fmac_f64_e32 v[34:35], s[4:5], v[106:107]
	;; [unrolled: 1-line block ×3, first 2 shown]
	v_add_f64 v[106:107], v[96:97], v[104:105]
	v_fmac_f64_e32 v[2:3], -0.5, v[106:107]
	v_fma_f64 v[174:175], s[12:13], v[102:103], v[2:3]
	v_add_f64 v[96:97], v[98:99], -v[96:97]
	v_add_f64 v[98:99], v[100:101], -v[104:105]
	v_fmac_f64_e32 v[2:3], s[2:3], v[102:103]
	v_fmac_f64_e32 v[174:175], s[8:9], v[108:109]
	v_add_f64 v[96:97], v[96:97], v[98:99]
	v_fmac_f64_e32 v[2:3], s[10:11], v[108:109]
	v_fmac_f64_e32 v[174:175], s[4:5], v[96:97]
	;; [unrolled: 1-line block ×3, first 2 shown]
	s_barrier
	scratch_load_dword v96, off, off        ; 4-byte Folded Reload
	s_waitcnt vmcnt(0)
	ds_write_b128 v96, v[92:95]
	ds_write_b128 v96, v[84:87] offset:80
	ds_write_b128 v96, v[76:79] offset:160
	;; [unrolled: 1-line block ×4, first 2 shown]
	scratch_load_dword v20, off, off offset:4 ; 4-byte Folded Reload
	s_waitcnt vmcnt(0)
	ds_write_b128 v20, v[88:91]
	ds_write_b128 v20, v[24:27] offset:80
	ds_write_b128 v20, v[72:75] offset:160
	;; [unrolled: 1-line block ×4, first 2 shown]
	scratch_load_dword v12, off, off offset:8 ; 4-byte Folded Reload
	v_accvgpr_read_b32 v100, a184
	v_accvgpr_read_b32 v102, a186
	;; [unrolled: 1-line block ×3, first 2 shown]
	s_waitcnt vmcnt(0)
	ds_write_b128 v12, v[64:67]
	ds_write_b128 v12, v[56:59] offset:80
	ds_write_b128 v12, v[52:55] offset:160
	ds_write_b128 v12, v[8:11] offset:240
	ds_write_b128 v12, v[44:47] offset:320
	ds_write_b128 v230, v[48:51]
	ds_write_b128 v230, v[40:43] offset:80
	ds_write_b128 v230, v[36:39] offset:160
	ds_write_b128 v230, v[4:7] offset:240
	ds_write_b128 v230, v[28:31] offset:320
	;; [unrolled: 5-line block ×3, first 2 shown]
	s_waitcnt lgkmcnt(0)
	s_barrier
	ds_read_b128 v[20:23], v228
	ds_read_b128 v[96:99], v228 offset:10000
	ds_read_b128 v[92:95], v228 offset:20000
	;; [unrolled: 1-line block ×24, first 2 shown]
	v_accvgpr_read_b32 v101, a185
	s_waitcnt lgkmcnt(14)
	v_mul_f64 v[238:239], v[102:103], v[98:99]
	v_fmac_f64_e32 v[238:239], v[100:101], v[96:97]
	v_mul_f64 v[96:97], v[102:103], v[96:97]
	v_fma_f64 v[172:173], v[100:101], v[98:99], -v[96:97]
	v_accvgpr_read_b32 v96, a180
	v_accvgpr_read_b32 v98, a182
	v_accvgpr_read_b32 v99, a183
	v_accvgpr_read_b32 v97, a181
	v_mul_f64 v[234:235], v[98:99], v[94:95]
	v_fmac_f64_e32 v[234:235], v[96:97], v[92:93]
	v_mul_f64 v[92:93], v[98:99], v[92:93]
	v_fma_f64 v[174:175], v[96:97], v[94:95], -v[92:93]
	v_accvgpr_read_b32 v92, a192
	v_accvgpr_read_b32 v94, a194
	v_accvgpr_read_b32 v95, a195
	v_accvgpr_read_b32 v93, a193
	;; [unrolled: 8-line block ×8, first 2 shown]
	s_waitcnt lgkmcnt(13)
	v_mul_f64 v[120:121], v[70:71], v[66:67]
	v_fmac_f64_e32 v[120:121], v[68:69], v[64:65]
	v_mul_f64 v[64:65], v[70:71], v[64:65]
	v_fma_f64 v[114:115], v[68:69], v[66:67], -v[64:65]
	v_accvgpr_read_b32 v64, a220
	v_accvgpr_read_b32 v66, a222
	v_accvgpr_read_b32 v67, a223
	v_accvgpr_read_b32 v65, a221
	s_waitcnt lgkmcnt(12)
	v_mul_f64 v[122:123], v[66:67], v[62:63]
	v_fmac_f64_e32 v[122:123], v[64:65], v[60:61]
	v_mul_f64 v[60:61], v[66:67], v[60:61]
	v_fma_f64 v[118:119], v[64:65], v[62:63], -v[60:61]
	v_accvgpr_read_b32 v60, a224
	v_accvgpr_read_b32 v62, a226
	v_accvgpr_read_b32 v63, a227
	v_accvgpr_read_b32 v61, a225
	;; [unrolled: 9-line block ×7, first 2 shown]
	s_waitcnt lgkmcnt(5)
	v_mul_f64 v[34:35], v[42:43], v[26:27]
	v_fmac_f64_e32 v[34:35], v[40:41], v[24:25]
	v_mul_f64 v[24:25], v[42:43], v[24:25]
	v_fma_f64 v[24:25], v[40:41], v[26:27], -v[24:25]
	s_waitcnt lgkmcnt(3)
	v_mul_f64 v[40:41], v[146:147], v[44:45]
	v_fma_f64 v[92:93], v[144:145], v[46:47], -v[40:41]
	v_accvgpr_read_b32 v40, a248
	v_accvgpr_read_b32 v42, a250
	v_accvgpr_read_b32 v43, a251
	v_accvgpr_read_b32 v41, a249
	s_waitcnt lgkmcnt(2)
	v_mul_f64 v[98:99], v[42:43], v[38:39]
	v_fmac_f64_e32 v[98:99], v[40:41], v[36:37]
	v_mul_f64 v[36:37], v[42:43], v[36:37]
	v_fma_f64 v[94:95], v[40:41], v[38:39], -v[36:37]
	v_accvgpr_read_b32 v36, a252
	v_accvgpr_read_b32 v38, a254
	v_accvgpr_read_b32 v39, a255
	v_accvgpr_read_b32 v37, a253
	s_waitcnt lgkmcnt(1)
	v_mul_f64 v[102:103], v[38:39], v[30:31]
	v_fmac_f64_e32 v[102:103], v[36:37], v[28:29]
	;; [unrolled: 9-line block ×3, first 2 shown]
	v_mul_f64 v[16:17], v[30:31], v[16:17]
	v_fma_f64 v[100:101], v[28:29], v[18:19], -v[16:17]
	v_add_f64 v[16:17], v[20:21], v[238:239]
	v_add_f64 v[16:17], v[16:17], v[234:235]
	;; [unrolled: 1-line block ×5, first 2 shown]
	v_fma_f64 v[68:69], -0.5, v[16:17], v[20:21]
	v_add_f64 v[16:17], v[172:173], -v[84:85]
	v_fma_f64 v[80:81], s[12:13], v[16:17], v[68:69]
	v_add_f64 v[18:19], v[174:175], -v[236:237]
	v_add_f64 v[28:29], v[238:239], -v[234:235]
	v_add_f64 v[30:31], v[230:231], -v[240:241]
	v_fmac_f64_e32 v[68:69], s[2:3], v[16:17]
	v_fmac_f64_e32 v[80:81], s[10:11], v[18:19]
	v_add_f64 v[28:29], v[28:29], v[30:31]
	v_fmac_f64_e32 v[68:69], s[8:9], v[18:19]
	v_fmac_f64_e32 v[80:81], s[4:5], v[28:29]
	v_fmac_f64_e32 v[68:69], s[4:5], v[28:29]
	v_add_f64 v[28:29], v[238:239], v[230:231]
	v_fmac_f64_e32 v[20:21], -0.5, v[28:29]
	v_fma_f64 v[76:77], s[2:3], v[18:19], v[20:21]
	v_fmac_f64_e32 v[20:21], s[12:13], v[18:19]
	v_fmac_f64_e32 v[76:77], s[10:11], v[16:17]
	v_fmac_f64_e32 v[20:21], s[8:9], v[16:17]
	v_add_f64 v[16:17], v[22:23], v[172:173]
	v_add_f64 v[16:17], v[16:17], v[174:175]
	v_add_f64 v[16:17], v[16:17], v[236:237]
	v_add_f64 v[28:29], v[234:235], -v[238:239]
	v_add_f64 v[30:31], v[240:241], -v[230:231]
	v_add_f64 v[90:91], v[16:17], v[84:85]
	v_add_f64 v[16:17], v[174:175], v[236:237]
	v_add_f64 v[28:29], v[28:29], v[30:31]
	v_fma_f64 v[70:71], -0.5, v[16:17], v[22:23]
	v_add_f64 v[16:17], v[238:239], -v[230:231]
	v_fmac_f64_e32 v[76:77], s[4:5], v[28:29]
	v_fmac_f64_e32 v[20:21], s[4:5], v[28:29]
	v_fma_f64 v[82:83], s[2:3], v[16:17], v[70:71]
	v_add_f64 v[18:19], v[234:235], -v[240:241]
	v_add_f64 v[28:29], v[172:173], -v[174:175]
	v_add_f64 v[30:31], v[84:85], -v[236:237]
	v_fmac_f64_e32 v[70:71], s[12:13], v[16:17]
	v_fmac_f64_e32 v[82:83], s[8:9], v[18:19]
	v_add_f64 v[28:29], v[28:29], v[30:31]
	v_fmac_f64_e32 v[70:71], s[10:11], v[18:19]
	v_fmac_f64_e32 v[82:83], s[4:5], v[28:29]
	v_fmac_f64_e32 v[70:71], s[4:5], v[28:29]
	v_add_f64 v[28:29], v[172:173], v[84:85]
	v_fmac_f64_e32 v[22:23], -0.5, v[28:29]
	v_fma_f64 v[78:79], s[12:13], v[18:19], v[22:23]
	v_fmac_f64_e32 v[22:23], s[2:3], v[18:19]
	v_fmac_f64_e32 v[78:79], s[8:9], v[16:17]
	v_fmac_f64_e32 v[22:23], s[10:11], v[16:17]
	v_add_f64 v[16:17], v[12:13], v[134:135]
	v_add_f64 v[16:17], v[16:17], v[248:249]
	v_add_f64 v[16:17], v[16:17], v[242:243]
	v_add_f64 v[28:29], v[174:175], -v[172:173]
	v_add_f64 v[30:31], v[236:237], -v[84:85]
	v_add_f64 v[84:85], v[16:17], v[74:75]
	v_add_f64 v[16:17], v[248:249], v[242:243]
	v_add_f64 v[28:29], v[28:29], v[30:31]
	v_fma_f64 v[60:61], -0.5, v[16:17], v[12:13]
	v_add_f64 v[16:17], v[128:129], -v[250:251]
	v_fmac_f64_e32 v[78:79], s[4:5], v[28:29]
	v_fmac_f64_e32 v[22:23], s[4:5], v[28:29]
	;; [unrolled: 28-line block ×3, first 2 shown]
	v_fma_f64 v[174:175], s[2:3], v[16:17], v[62:63]
	v_add_f64 v[18:19], v[248:249], -v[242:243]
	v_add_f64 v[28:29], v[128:129], -v[132:133]
	;; [unrolled: 1-line block ×3, first 2 shown]
	v_fmac_f64_e32 v[62:63], s[12:13], v[16:17]
	v_fmac_f64_e32 v[174:175], s[8:9], v[18:19]
	v_add_f64 v[28:29], v[28:29], v[30:31]
	v_fmac_f64_e32 v[62:63], s[10:11], v[18:19]
	v_fmac_f64_e32 v[174:175], s[4:5], v[28:29]
	v_fmac_f64_e32 v[62:63], s[4:5], v[28:29]
	v_add_f64 v[28:29], v[128:129], v[250:251]
	v_fmac_f64_e32 v[14:15], -0.5, v[28:29]
	v_fma_f64 v[74:75], s[12:13], v[18:19], v[14:15]
	v_fmac_f64_e32 v[14:15], s[2:3], v[18:19]
	v_fmac_f64_e32 v[74:75], s[8:9], v[16:17]
	;; [unrolled: 1-line block ×3, first 2 shown]
	v_add_f64 v[16:17], v[8:9], v[120:121]
	v_add_f64 v[16:17], v[16:17], v[122:123]
	v_add_f64 v[16:17], v[16:17], v[130:131]
	v_mul_f64 v[26:27], v[146:147], v[46:47]
	v_add_f64 v[28:29], v[132:133], -v[128:129]
	v_add_f64 v[30:31], v[136:137], -v[250:251]
	v_add_f64 v[64:65], v[16:17], v[58:59]
	v_add_f64 v[16:17], v[122:123], v[130:131]
	v_fmac_f64_e32 v[26:27], v[144:145], v[44:45]
	v_add_f64 v[28:29], v[28:29], v[30:31]
	v_fma_f64 v[44:45], -0.5, v[16:17], v[8:9]
	v_add_f64 v[16:17], v[114:115], -v[126:127]
	v_fmac_f64_e32 v[74:75], s[4:5], v[28:29]
	v_fmac_f64_e32 v[14:15], s[4:5], v[28:29]
	v_fma_f64 v[56:57], s[12:13], v[16:17], v[44:45]
	v_add_f64 v[18:19], v[118:119], -v[124:125]
	v_add_f64 v[28:29], v[120:121], -v[122:123]
	;; [unrolled: 1-line block ×3, first 2 shown]
	v_fmac_f64_e32 v[44:45], s[2:3], v[16:17]
	v_fmac_f64_e32 v[56:57], s[10:11], v[18:19]
	v_add_f64 v[28:29], v[28:29], v[30:31]
	v_fmac_f64_e32 v[44:45], s[8:9], v[18:19]
	v_fmac_f64_e32 v[56:57], s[4:5], v[28:29]
	;; [unrolled: 1-line block ×3, first 2 shown]
	v_add_f64 v[28:29], v[120:121], v[58:59]
	v_fmac_f64_e32 v[8:9], -0.5, v[28:29]
	v_fma_f64 v[52:53], s[2:3], v[18:19], v[8:9]
	v_fmac_f64_e32 v[8:9], s[12:13], v[18:19]
	v_fmac_f64_e32 v[52:53], s[10:11], v[16:17]
	v_fmac_f64_e32 v[8:9], s[8:9], v[16:17]
	v_add_f64 v[16:17], v[10:11], v[114:115]
	v_add_f64 v[16:17], v[16:17], v[118:119]
	;; [unrolled: 1-line block ×3, first 2 shown]
	v_add_f64 v[28:29], v[122:123], -v[120:121]
	v_add_f64 v[30:31], v[130:131], -v[58:59]
	v_add_f64 v[66:67], v[16:17], v[126:127]
	v_add_f64 v[16:17], v[118:119], v[124:125]
	;; [unrolled: 1-line block ×3, first 2 shown]
	v_fma_f64 v[46:47], -0.5, v[16:17], v[10:11]
	v_add_f64 v[16:17], v[120:121], -v[58:59]
	v_fmac_f64_e32 v[52:53], s[4:5], v[28:29]
	v_fmac_f64_e32 v[8:9], s[4:5], v[28:29]
	v_fma_f64 v[58:59], s[2:3], v[16:17], v[46:47]
	v_add_f64 v[18:19], v[122:123], -v[130:131]
	v_add_f64 v[28:29], v[114:115], -v[118:119]
	;; [unrolled: 1-line block ×3, first 2 shown]
	v_fmac_f64_e32 v[46:47], s[12:13], v[16:17]
	v_fmac_f64_e32 v[58:59], s[8:9], v[18:19]
	v_add_f64 v[28:29], v[28:29], v[30:31]
	v_fmac_f64_e32 v[46:47], s[10:11], v[18:19]
	v_fmac_f64_e32 v[58:59], s[4:5], v[28:29]
	;; [unrolled: 1-line block ×3, first 2 shown]
	v_add_f64 v[28:29], v[114:115], v[126:127]
	v_fmac_f64_e32 v[10:11], -0.5, v[28:29]
	v_fma_f64 v[54:55], s[12:13], v[18:19], v[10:11]
	v_fmac_f64_e32 v[10:11], s[2:3], v[18:19]
	v_fmac_f64_e32 v[54:55], s[8:9], v[16:17]
	;; [unrolled: 1-line block ×3, first 2 shown]
	v_add_f64 v[16:17], v[4:5], v[110:111]
	v_add_f64 v[16:17], v[16:17], v[112:113]
	v_add_f64 v[28:29], v[118:119], -v[114:115]
	v_add_f64 v[30:31], v[124:125], -v[126:127]
	v_add_f64 v[16:17], v[16:17], v[116:117]
	v_add_f64 v[28:29], v[28:29], v[30:31]
	;; [unrolled: 1-line block ×4, first 2 shown]
	v_fmac_f64_e32 v[54:55], s[4:5], v[28:29]
	v_fmac_f64_e32 v[10:11], s[4:5], v[28:29]
	v_fma_f64 v[28:29], -0.5, v[16:17], v[4:5]
	v_add_f64 v[16:17], v[104:105], -v[24:25]
	v_fma_f64 v[40:41], s[12:13], v[16:17], v[28:29]
	v_add_f64 v[18:19], v[108:109], -v[32:33]
	v_add_f64 v[30:31], v[110:111], -v[112:113]
	;; [unrolled: 1-line block ×3, first 2 shown]
	v_fmac_f64_e32 v[28:29], s[2:3], v[16:17]
	v_fmac_f64_e32 v[40:41], s[10:11], v[18:19]
	v_add_f64 v[30:31], v[30:31], v[36:37]
	v_fmac_f64_e32 v[28:29], s[8:9], v[18:19]
	v_fmac_f64_e32 v[40:41], s[4:5], v[30:31]
	;; [unrolled: 1-line block ×3, first 2 shown]
	v_add_f64 v[30:31], v[110:111], v[34:35]
	v_fmac_f64_e32 v[4:5], -0.5, v[30:31]
	v_fma_f64 v[36:37], s[2:3], v[18:19], v[4:5]
	v_fmac_f64_e32 v[4:5], s[12:13], v[18:19]
	v_fmac_f64_e32 v[36:37], s[10:11], v[16:17]
	;; [unrolled: 1-line block ×3, first 2 shown]
	v_add_f64 v[16:17], v[6:7], v[104:105]
	v_add_f64 v[16:17], v[16:17], v[108:109]
	v_add_f64 v[30:31], v[112:113], -v[110:111]
	v_add_f64 v[38:39], v[116:117], -v[34:35]
	v_add_f64 v[16:17], v[16:17], v[32:33]
	v_add_f64 v[30:31], v[30:31], v[38:39]
	;; [unrolled: 1-line block ×4, first 2 shown]
	v_fmac_f64_e32 v[36:37], s[4:5], v[30:31]
	v_fmac_f64_e32 v[4:5], s[4:5], v[30:31]
	v_fma_f64 v[30:31], -0.5, v[16:17], v[6:7]
	v_add_f64 v[16:17], v[110:111], -v[34:35]
	v_fma_f64 v[42:43], s[2:3], v[16:17], v[30:31]
	v_add_f64 v[18:19], v[112:113], -v[116:117]
	v_add_f64 v[34:35], v[104:105], -v[108:109]
	;; [unrolled: 1-line block ×3, first 2 shown]
	v_fmac_f64_e32 v[30:31], s[12:13], v[16:17]
	v_fmac_f64_e32 v[42:43], s[8:9], v[18:19]
	v_add_f64 v[34:35], v[34:35], v[38:39]
	v_fmac_f64_e32 v[30:31], s[10:11], v[18:19]
	v_fmac_f64_e32 v[42:43], s[4:5], v[34:35]
	;; [unrolled: 1-line block ×3, first 2 shown]
	v_add_f64 v[34:35], v[104:105], v[24:25]
	v_fmac_f64_e32 v[6:7], -0.5, v[34:35]
	v_fma_f64 v[38:39], s[12:13], v[18:19], v[6:7]
	v_fmac_f64_e32 v[6:7], s[2:3], v[18:19]
	v_fmac_f64_e32 v[38:39], s[8:9], v[16:17]
	;; [unrolled: 1-line block ×3, first 2 shown]
	v_add_f64 v[16:17], v[0:1], v[26:27]
	v_add_f64 v[16:17], v[16:17], v[98:99]
	v_add_f64 v[16:17], v[16:17], v[102:103]
	v_add_f64 v[34:35], v[108:109], -v[104:105]
	v_add_f64 v[24:25], v[32:33], -v[24:25]
	v_add_f64 v[32:33], v[16:17], v[106:107]
	v_add_f64 v[16:17], v[98:99], v[102:103]
	;; [unrolled: 1-line block ×3, first 2 shown]
	v_fma_f64 v[16:17], -0.5, v[16:17], v[0:1]
	v_add_f64 v[18:19], v[92:93], -v[100:101]
	v_fmac_f64_e32 v[38:39], s[4:5], v[24:25]
	v_fmac_f64_e32 v[6:7], s[4:5], v[24:25]
	v_fma_f64 v[24:25], s[12:13], v[18:19], v[16:17]
	v_add_f64 v[34:35], v[94:95], -v[96:97]
	v_add_f64 v[104:105], v[26:27], -v[98:99]
	;; [unrolled: 1-line block ×3, first 2 shown]
	v_fmac_f64_e32 v[16:17], s[2:3], v[18:19]
	v_fmac_f64_e32 v[24:25], s[10:11], v[34:35]
	v_add_f64 v[104:105], v[104:105], v[108:109]
	v_fmac_f64_e32 v[16:17], s[8:9], v[34:35]
	v_fmac_f64_e32 v[24:25], s[4:5], v[104:105]
	;; [unrolled: 1-line block ×3, first 2 shown]
	v_add_f64 v[104:105], v[26:27], v[106:107]
	v_fmac_f64_e32 v[0:1], -0.5, v[104:105]
	v_fma_f64 v[144:145], s[2:3], v[34:35], v[0:1]
	v_fmac_f64_e32 v[0:1], s[12:13], v[34:35]
	v_fmac_f64_e32 v[144:145], s[10:11], v[18:19]
	;; [unrolled: 1-line block ×3, first 2 shown]
	v_add_f64 v[18:19], v[2:3], v[92:93]
	v_add_f64 v[18:19], v[18:19], v[94:95]
	v_add_f64 v[104:105], v[98:99], -v[26:27]
	v_add_f64 v[108:109], v[102:103], -v[106:107]
	v_add_f64 v[18:19], v[18:19], v[96:97]
	v_add_f64 v[104:105], v[104:105], v[108:109]
	v_add_f64 v[34:35], v[18:19], v[100:101]
	v_add_f64 v[18:19], v[94:95], v[96:97]
	v_fmac_f64_e32 v[144:145], s[4:5], v[104:105]
	v_fmac_f64_e32 v[0:1], s[4:5], v[104:105]
	v_fma_f64 v[18:19], -0.5, v[18:19], v[2:3]
	v_add_f64 v[104:105], v[26:27], -v[106:107]
	v_fma_f64 v[26:27], s[2:3], v[104:105], v[18:19]
	v_add_f64 v[98:99], v[98:99], -v[102:103]
	v_add_f64 v[102:103], v[92:93], -v[94:95]
	;; [unrolled: 1-line block ×3, first 2 shown]
	v_fmac_f64_e32 v[18:19], s[12:13], v[104:105]
	v_fmac_f64_e32 v[26:27], s[8:9], v[98:99]
	v_add_f64 v[102:103], v[102:103], v[106:107]
	v_fmac_f64_e32 v[18:19], s[10:11], v[98:99]
	v_fmac_f64_e32 v[26:27], s[4:5], v[102:103]
	;; [unrolled: 1-line block ×3, first 2 shown]
	v_add_f64 v[102:103], v[92:93], v[100:101]
	v_fmac_f64_e32 v[2:3], -0.5, v[102:103]
	v_fma_f64 v[146:147], s[12:13], v[98:99], v[2:3]
	v_add_f64 v[92:93], v[94:95], -v[92:93]
	v_add_f64 v[94:95], v[96:97], -v[100:101]
	v_fmac_f64_e32 v[2:3], s[2:3], v[98:99]
	v_fmac_f64_e32 v[146:147], s[8:9], v[104:105]
	v_add_f64 v[92:93], v[92:93], v[94:95]
	v_fmac_f64_e32 v[2:3], s[10:11], v[104:105]
	v_fmac_f64_e32 v[146:147], s[4:5], v[92:93]
	;; [unrolled: 1-line block ×3, first 2 shown]
	s_barrier
	scratch_load_dword v92, off, off offset:140 ; 4-byte Folded Reload
	s_waitcnt vmcnt(0)
	ds_write_b128 v92, v[88:91]
	ds_write_b128 v92, v[80:83] offset:400
	ds_write_b128 v92, v[76:79] offset:800
	ds_write_b128 v92, v[20:23] offset:1200
	ds_write_b128 v92, v[68:71] offset:1600
	scratch_load_dword v20, off, off offset:144 ; 4-byte Folded Reload
	s_waitcnt vmcnt(0)
	ds_write_b128 v20, v[84:87]
	ds_write_b128 v20, v[172:175] offset:400
	ds_write_b128 v20, v[72:75] offset:800
	ds_write_b128 v20, v[12:15] offset:1200
	ds_write_b128 v20, v[60:63] offset:1600
	;; [unrolled: 7-line block ×3, first 2 shown]
	ds_write_b128 v227, v[48:51]
	ds_write_b128 v227, v[40:43] offset:400
	ds_write_b128 v227, v[36:39] offset:800
	;; [unrolled: 1-line block ×4, first 2 shown]
	ds_write_b128 v226, v[32:35]
	ds_write_b128 v226, v[24:27] offset:400
	ds_write_b128 v226, v[144:147] offset:800
	;; [unrolled: 1-line block ×4, first 2 shown]
	s_waitcnt lgkmcnt(0)
	s_barrier
	ds_read_b128 v[16:19], v228
	ds_read_b128 v[92:95], v228 offset:10000
	ds_read_b128 v[88:91], v228 offset:20000
	;; [unrolled: 1-line block ×24, first 2 shown]
	s_waitcnt lgkmcnt(14)
	v_mul_f64 v[174:175], v[246:247], v[66:67]
	v_fmac_f64_e32 v[174:175], v[244:245], v[64:65]
	v_mul_f64 v[64:65], v[246:247], v[64:65]
	v_fma_f64 v[172:173], v[244:245], v[66:67], -v[64:65]
	v_accvgpr_read_b32 v67, a59
	v_accvgpr_read_b32 v66, a58
	;; [unrolled: 1-line block ×4, first 2 shown]
	s_waitcnt lgkmcnt(13)
	v_mul_f64 v[128:129], v[66:67], v[62:63]
	v_fmac_f64_e32 v[128:129], v[64:65], v[60:61]
	v_mul_f64 v[60:61], v[66:67], v[60:61]
	v_fma_f64 v[114:115], v[64:65], v[62:63], -v[60:61]
	v_accvgpr_read_b32 v63, a55
	v_accvgpr_read_b32 v62, a54
	;; [unrolled: 1-line block ×4, first 2 shown]
	s_waitcnt lgkmcnt(12)
	v_mul_f64 v[132:133], v[62:63], v[58:59]
	v_fmac_f64_e32 v[132:133], v[60:61], v[56:57]
	v_mul_f64 v[56:57], v[62:63], v[56:57]
	v_fma_f64 v[126:127], v[60:61], v[58:59], -v[56:57]
	v_accvgpr_read_b32 v59, a51
	v_mul_f64 v[96:97], v[140:141], v[94:95]
	v_mul_f64 v[102:103], v[140:141], v[78:79]
	v_accvgpr_read_b32 v58, a50
	v_fmac_f64_e32 v[96:97], v[138:139], v[92:93]
	v_mul_f64 v[92:93], v[140:141], v[92:93]
	v_fmac_f64_e32 v[102:103], v[138:139], v[76:77]
	v_mul_f64 v[76:77], v[140:141], v[76:77]
	v_accvgpr_read_b32 v57, a49
	v_accvgpr_read_b32 v56, a48
	s_waitcnt lgkmcnt(11)
	v_mul_f64 v[140:141], v[58:59], v[54:55]
	v_fmac_f64_e32 v[140:141], v[56:57], v[52:53]
	v_mul_f64 v[52:53], v[58:59], v[52:53]
	v_fma_f64 v[134:135], v[56:57], v[54:55], -v[52:53]
	v_accvgpr_read_b32 v55, a47
	v_mul_f64 v[100:101], v[150:151], v[90:91]
	v_mul_f64 v[116:117], v[150:151], v[74:75]
	v_accvgpr_read_b32 v54, a46
	v_fmac_f64_e32 v[100:101], v[148:149], v[88:89]
	v_mul_f64 v[88:89], v[150:151], v[88:89]
	v_mul_f64 v[106:107], v[254:255], v[86:87]
	v_fmac_f64_e32 v[116:117], v[148:149], v[72:73]
	v_mul_f64 v[72:73], v[150:151], v[72:73]
	v_accvgpr_read_b32 v53, a45
	v_accvgpr_read_b32 v52, a44
	s_waitcnt lgkmcnt(10)
	v_mul_f64 v[150:151], v[54:55], v[50:51]
	v_fmac_f64_e32 v[106:107], v[252:253], v[84:85]
	v_mul_f64 v[84:85], v[254:255], v[84:85]
	v_fmac_f64_e32 v[150:151], v[52:53], v[48:49]
	v_mul_f64 v[48:49], v[54:55], v[48:49]
	v_fma_f64 v[92:93], v[138:139], v[94:95], -v[92:93]
	v_fma_f64 v[88:89], v[148:149], v[90:91], -v[88:89]
	;; [unrolled: 1-line block ×5, first 2 shown]
	v_accvgpr_read_b32 v51, a43
	v_accvgpr_read_b32 v50, a42
	v_accvgpr_read_b32 v49, a41
	v_accvgpr_read_b32 v48, a40
	s_waitcnt lgkmcnt(8)
	v_mul_f64 v[110:111], v[50:51], v[46:47]
	v_fmac_f64_e32 v[110:111], v[48:49], v[44:45]
	v_mul_f64 v[44:45], v[50:51], v[44:45]
	v_fma_f64 v[94:95], v[48:49], v[46:47], -v[44:45]
	v_accvgpr_read_b32 v47, a39
	v_accvgpr_read_b32 v46, a38
	v_accvgpr_read_b32 v45, a37
	v_accvgpr_read_b32 v44, a36
	s_waitcnt lgkmcnt(7)
	v_mul_f64 v[118:119], v[46:47], v[38:39]
	v_fmac_f64_e32 v[118:119], v[44:45], v[36:37]
	v_mul_f64 v[36:37], v[46:47], v[36:37]
	v_fma_f64 v[104:105], v[44:45], v[38:39], -v[36:37]
	;; [unrolled: 9-line block ×4, first 2 shown]
	v_accvgpr_read_b32 v31, a27
	v_accvgpr_read_b32 v30, a26
	;; [unrolled: 1-line block ×4, first 2 shown]
	s_waitcnt lgkmcnt(3)
	v_mul_f64 v[76:77], v[30:31], v[42:43]
	v_mul_f64 v[20:21], v[30:31], v[40:41]
	;; [unrolled: 1-line block ×3, first 2 shown]
	v_fma_f64 v[112:113], v[148:149], v[74:75], -v[72:73]
	v_fmac_f64_e32 v[76:77], v[28:29], v[40:41]
	v_fma_f64 v[72:73], v[28:29], v[42:43], -v[20:21]
	v_accvgpr_read_b32 v31, a23
	v_fmac_f64_e32 v[108:109], v[244:245], v[80:81]
	v_mul_f64 v[80:81], v[246:247], v[80:81]
	v_accvgpr_read_b32 v30, a22
	v_fma_f64 v[98:99], v[244:245], v[82:83], -v[80:81]
	v_accvgpr_read_b32 v29, a21
	v_accvgpr_read_b32 v28, a20
	s_waitcnt lgkmcnt(2)
	v_mul_f64 v[80:81], v[30:31], v[34:35]
	v_mul_f64 v[20:21], v[30:31], v[32:33]
	v_fmac_f64_e32 v[80:81], v[28:29], v[32:33]
	v_fma_f64 v[74:75], v[28:29], v[34:35], -v[20:21]
	v_accvgpr_read_b32 v31, a19
	v_accvgpr_read_b32 v30, a18
	;; [unrolled: 1-line block ×4, first 2 shown]
	s_waitcnt lgkmcnt(1)
	v_mul_f64 v[20:21], v[30:31], v[24:25]
	v_fma_f64 v[78:79], v[28:29], v[26:27], -v[20:21]
	v_accvgpr_read_b32 v23, a15
	v_accvgpr_read_b32 v22, a14
	;; [unrolled: 1-line block ×4, first 2 shown]
	s_waitcnt lgkmcnt(0)
	v_mul_f64 v[34:35], v[22:23], v[14:15]
	v_fmac_f64_e32 v[34:35], v[20:21], v[12:13]
	v_mul_f64 v[12:13], v[22:23], v[12:13]
	v_fma_f64 v[82:83], v[20:21], v[14:15], -v[12:13]
	v_add_f64 v[12:13], v[16:17], v[96:97]
	v_mul_f64 v[148:149], v[254:255], v[70:71]
	v_add_f64 v[12:13], v[12:13], v[100:101]
	v_fmac_f64_e32 v[148:149], v[252:253], v[68:69]
	v_mul_f64 v[68:69], v[254:255], v[68:69]
	v_add_f64 v[12:13], v[12:13], v[106:107]
	v_fma_f64 v[136:137], v[252:253], v[70:71], -v[68:69]
	v_add_f64 v[68:69], v[12:13], v[108:109]
	v_add_f64 v[12:13], v[100:101], v[106:107]
	v_fma_f64 v[44:45], -0.5, v[12:13], v[16:17]
	v_add_f64 v[12:13], v[92:93], -v[98:99]
	v_fma_f64 v[60:61], s[12:13], v[12:13], v[44:45]
	v_add_f64 v[14:15], v[88:89], -v[90:91]
	v_add_f64 v[20:21], v[96:97], -v[100:101]
	v_add_f64 v[22:23], v[108:109], -v[106:107]
	v_fmac_f64_e32 v[44:45], s[2:3], v[12:13]
	v_fmac_f64_e32 v[60:61], s[10:11], v[14:15]
	v_add_f64 v[20:21], v[20:21], v[22:23]
	v_fmac_f64_e32 v[44:45], s[8:9], v[14:15]
	v_fmac_f64_e32 v[60:61], s[4:5], v[20:21]
	;; [unrolled: 1-line block ×3, first 2 shown]
	v_add_f64 v[20:21], v[96:97], v[108:109]
	v_fmac_f64_e32 v[16:17], -0.5, v[20:21]
	v_fma_f64 v[52:53], s[2:3], v[14:15], v[16:17]
	v_fmac_f64_e32 v[16:17], s[12:13], v[14:15]
	v_fmac_f64_e32 v[52:53], s[10:11], v[12:13]
	;; [unrolled: 1-line block ×3, first 2 shown]
	v_add_f64 v[12:13], v[18:19], v[92:93]
	v_add_f64 v[12:13], v[12:13], v[88:89]
	;; [unrolled: 1-line block ×3, first 2 shown]
	v_add_f64 v[20:21], v[100:101], -v[96:97]
	v_add_f64 v[22:23], v[106:107], -v[108:109]
	v_add_f64 v[70:71], v[12:13], v[98:99]
	v_add_f64 v[12:13], v[88:89], v[90:91]
	;; [unrolled: 1-line block ×3, first 2 shown]
	v_fma_f64 v[46:47], -0.5, v[12:13], v[18:19]
	v_add_f64 v[12:13], v[96:97], -v[108:109]
	v_fmac_f64_e32 v[52:53], s[4:5], v[20:21]
	v_fmac_f64_e32 v[16:17], s[4:5], v[20:21]
	v_fma_f64 v[62:63], s[2:3], v[12:13], v[46:47]
	v_add_f64 v[14:15], v[100:101], -v[106:107]
	v_add_f64 v[20:21], v[92:93], -v[88:89]
	;; [unrolled: 1-line block ×3, first 2 shown]
	v_fmac_f64_e32 v[46:47], s[12:13], v[12:13]
	v_fmac_f64_e32 v[62:63], s[8:9], v[14:15]
	v_add_f64 v[20:21], v[20:21], v[22:23]
	v_fmac_f64_e32 v[46:47], s[10:11], v[14:15]
	v_fmac_f64_e32 v[62:63], s[4:5], v[20:21]
	;; [unrolled: 1-line block ×3, first 2 shown]
	v_add_f64 v[20:21], v[92:93], v[98:99]
	v_fmac_f64_e32 v[18:19], -0.5, v[20:21]
	v_fma_f64 v[54:55], s[12:13], v[14:15], v[18:19]
	v_fmac_f64_e32 v[18:19], s[2:3], v[14:15]
	v_fmac_f64_e32 v[54:55], s[8:9], v[12:13]
	;; [unrolled: 1-line block ×3, first 2 shown]
	v_add_f64 v[12:13], v[8:9], v[102:103]
	v_add_f64 v[12:13], v[12:13], v[116:117]
	;; [unrolled: 1-line block ×3, first 2 shown]
	v_mul_f64 v[84:85], v[30:31], v[26:27]
	v_add_f64 v[20:21], v[88:89], -v[92:93]
	v_add_f64 v[22:23], v[90:91], -v[98:99]
	v_add_f64 v[64:65], v[12:13], v[174:175]
	v_add_f64 v[12:13], v[116:117], v[148:149]
	v_fmac_f64_e32 v[84:85], v[28:29], v[24:25]
	v_add_f64 v[20:21], v[20:21], v[22:23]
	v_fma_f64 v[28:29], -0.5, v[12:13], v[8:9]
	v_add_f64 v[12:13], v[86:87], -v[172:173]
	v_fmac_f64_e32 v[54:55], s[4:5], v[20:21]
	v_fmac_f64_e32 v[18:19], s[4:5], v[20:21]
	v_fma_f64 v[56:57], s[12:13], v[12:13], v[28:29]
	v_add_f64 v[14:15], v[112:113], -v[136:137]
	v_add_f64 v[20:21], v[102:103], -v[116:117]
	;; [unrolled: 1-line block ×3, first 2 shown]
	v_fmac_f64_e32 v[28:29], s[2:3], v[12:13]
	v_fmac_f64_e32 v[56:57], s[10:11], v[14:15]
	v_add_f64 v[20:21], v[20:21], v[22:23]
	v_fmac_f64_e32 v[28:29], s[8:9], v[14:15]
	v_fmac_f64_e32 v[56:57], s[4:5], v[20:21]
	;; [unrolled: 1-line block ×3, first 2 shown]
	v_add_f64 v[20:21], v[102:103], v[174:175]
	v_fmac_f64_e32 v[8:9], -0.5, v[20:21]
	v_fma_f64 v[48:49], s[2:3], v[14:15], v[8:9]
	v_fmac_f64_e32 v[8:9], s[12:13], v[14:15]
	v_fmac_f64_e32 v[48:49], s[10:11], v[12:13]
	;; [unrolled: 1-line block ×3, first 2 shown]
	v_add_f64 v[12:13], v[10:11], v[86:87]
	v_add_f64 v[12:13], v[12:13], v[112:113]
	;; [unrolled: 1-line block ×3, first 2 shown]
	v_add_f64 v[20:21], v[116:117], -v[102:103]
	v_add_f64 v[22:23], v[148:149], -v[174:175]
	v_add_f64 v[66:67], v[12:13], v[172:173]
	v_add_f64 v[12:13], v[112:113], v[136:137]
	;; [unrolled: 1-line block ×3, first 2 shown]
	v_fma_f64 v[30:31], -0.5, v[12:13], v[10:11]
	v_add_f64 v[12:13], v[102:103], -v[174:175]
	v_fmac_f64_e32 v[48:49], s[4:5], v[20:21]
	v_fmac_f64_e32 v[8:9], s[4:5], v[20:21]
	v_fma_f64 v[58:59], s[2:3], v[12:13], v[30:31]
	v_add_f64 v[14:15], v[116:117], -v[148:149]
	v_add_f64 v[20:21], v[86:87], -v[112:113]
	;; [unrolled: 1-line block ×3, first 2 shown]
	v_fmac_f64_e32 v[30:31], s[12:13], v[12:13]
	v_fmac_f64_e32 v[58:59], s[8:9], v[14:15]
	v_add_f64 v[20:21], v[20:21], v[22:23]
	v_fmac_f64_e32 v[30:31], s[10:11], v[14:15]
	v_fmac_f64_e32 v[58:59], s[4:5], v[20:21]
	;; [unrolled: 1-line block ×3, first 2 shown]
	v_add_f64 v[20:21], v[86:87], v[172:173]
	v_fmac_f64_e32 v[10:11], -0.5, v[20:21]
	v_fma_f64 v[50:51], s[12:13], v[14:15], v[10:11]
	v_add_f64 v[20:21], v[112:113], -v[86:87]
	v_add_f64 v[22:23], v[136:137], -v[172:173]
	v_fmac_f64_e32 v[10:11], s[2:3], v[14:15]
	v_fmac_f64_e32 v[50:51], s[8:9], v[12:13]
	v_add_f64 v[20:21], v[20:21], v[22:23]
	v_fmac_f64_e32 v[10:11], s[10:11], v[12:13]
	v_fmac_f64_e32 v[50:51], s[4:5], v[20:21]
	;; [unrolled: 1-line block ×3, first 2 shown]
	s_barrier
	ds_write_b128 v228, v[68:71]
	ds_write_b128 v228, v[60:63] offset:2000
	ds_write_b128 v228, v[52:55] offset:4000
	;; [unrolled: 1-line block ×9, first 2 shown]
	scratch_load_dword v8, off, off offset:264 ; 4-byte Folded Reload
	v_add_f64 v[12:13], v[144:145], v[128:129]
	v_add_f64 v[12:13], v[12:13], v[132:133]
	;; [unrolled: 1-line block ×5, first 2 shown]
	v_fma_f64 v[12:13], -0.5, v[12:13], v[144:145]
	v_add_f64 v[14:15], v[114:115], -v[138:139]
	v_fma_f64 v[36:37], s[12:13], v[14:15], v[12:13]
	v_add_f64 v[22:23], v[126:127], -v[134:135]
	v_add_f64 v[20:21], v[128:129], -v[132:133]
	;; [unrolled: 1-line block ×3, first 2 shown]
	v_fmac_f64_e32 v[12:13], s[2:3], v[14:15]
	v_fmac_f64_e32 v[36:37], s[10:11], v[22:23]
	v_add_f64 v[20:21], v[20:21], v[24:25]
	v_fmac_f64_e32 v[12:13], s[8:9], v[22:23]
	v_fmac_f64_e32 v[36:37], s[4:5], v[20:21]
	;; [unrolled: 1-line block ×3, first 2 shown]
	v_add_f64 v[20:21], v[128:129], v[150:151]
	v_fmac_f64_e32 v[144:145], -0.5, v[20:21]
	v_fma_f64 v[20:21], s[2:3], v[22:23], v[144:145]
	v_fmac_f64_e32 v[144:145], s[12:13], v[22:23]
	v_fmac_f64_e32 v[20:21], s[10:11], v[14:15]
	;; [unrolled: 1-line block ×3, first 2 shown]
	v_add_f64 v[14:15], v[146:147], v[114:115]
	v_add_f64 v[14:15], v[14:15], v[126:127]
	v_add_f64 v[24:25], v[132:133], -v[128:129]
	v_add_f64 v[26:27], v[140:141], -v[150:151]
	v_add_f64 v[14:15], v[14:15], v[134:135]
	v_add_f64 v[24:25], v[24:25], v[26:27]
	;; [unrolled: 1-line block ×4, first 2 shown]
	v_fmac_f64_e32 v[20:21], s[4:5], v[24:25]
	v_fmac_f64_e32 v[144:145], s[4:5], v[24:25]
	v_fma_f64 v[14:15], -0.5, v[14:15], v[146:147]
	v_add_f64 v[24:25], v[128:129], -v[150:151]
	v_fma_f64 v[38:39], s[2:3], v[24:25], v[14:15]
	v_add_f64 v[26:27], v[132:133], -v[140:141]
	v_add_f64 v[22:23], v[114:115], -v[126:127]
	v_add_f64 v[32:33], v[138:139], -v[134:135]
	v_fmac_f64_e32 v[14:15], s[12:13], v[24:25]
	v_fmac_f64_e32 v[38:39], s[8:9], v[26:27]
	v_add_f64 v[22:23], v[22:23], v[32:33]
	v_fmac_f64_e32 v[14:15], s[10:11], v[26:27]
	v_fmac_f64_e32 v[38:39], s[4:5], v[22:23]
	v_fmac_f64_e32 v[14:15], s[4:5], v[22:23]
	v_add_f64 v[22:23], v[114:115], v[138:139]
	v_fmac_f64_e32 v[146:147], -0.5, v[22:23]
	v_fma_f64 v[22:23], s[12:13], v[26:27], v[146:147]
	v_fmac_f64_e32 v[146:147], s[2:3], v[26:27]
	v_fmac_f64_e32 v[22:23], s[8:9], v[24:25]
	v_fmac_f64_e32 v[146:147], s[10:11], v[24:25]
	v_add_f64 v[24:25], v[4:5], v[110:111]
	v_add_f64 v[24:25], v[24:25], v[118:119]
	v_add_f64 v[24:25], v[24:25], v[122:123]
	v_add_f64 v[32:33], v[126:127], -v[114:115]
	v_add_f64 v[86:87], v[134:135], -v[138:139]
	v_add_f64 v[112:113], v[24:25], v[130:131]
	v_add_f64 v[24:25], v[118:119], v[122:123]
	v_add_f64 v[32:33], v[32:33], v[86:87]
	v_fma_f64 v[24:25], -0.5, v[24:25], v[4:5]
	v_add_f64 v[26:27], v[94:95], -v[124:125]
	v_fmac_f64_e32 v[22:23], s[4:5], v[32:33]
	v_fmac_f64_e32 v[146:147], s[4:5], v[32:33]
	v_fma_f64 v[108:109], s[12:13], v[26:27], v[24:25]
	v_add_f64 v[32:33], v[104:105], -v[120:121]
	v_add_f64 v[86:87], v[110:111], -v[118:119]
	v_add_f64 v[88:89], v[130:131], -v[122:123]
	v_fmac_f64_e32 v[24:25], s[2:3], v[26:27]
	v_fmac_f64_e32 v[108:109], s[10:11], v[32:33]
	v_add_f64 v[86:87], v[86:87], v[88:89]
	v_fmac_f64_e32 v[24:25], s[8:9], v[32:33]
	v_fmac_f64_e32 v[108:109], s[4:5], v[86:87]
	v_fmac_f64_e32 v[24:25], s[4:5], v[86:87]
	v_add_f64 v[86:87], v[110:111], v[130:131]
	v_fmac_f64_e32 v[4:5], -0.5, v[86:87]
	v_fma_f64 v[116:117], s[2:3], v[32:33], v[4:5]
	v_fmac_f64_e32 v[4:5], s[12:13], v[32:33]
	v_fmac_f64_e32 v[116:117], s[10:11], v[26:27]
	v_fmac_f64_e32 v[4:5], s[8:9], v[26:27]
	v_add_f64 v[26:27], v[6:7], v[94:95]
	v_add_f64 v[26:27], v[26:27], v[104:105]
	v_add_f64 v[26:27], v[26:27], v[120:121]
	v_add_f64 v[86:87], v[118:119], -v[110:111]
	v_add_f64 v[88:89], v[122:123], -v[130:131]
	v_add_f64 v[114:115], v[26:27], v[124:125]
	v_add_f64 v[26:27], v[104:105], v[120:121]
	v_add_f64 v[86:87], v[86:87], v[88:89]
	v_fma_f64 v[26:27], -0.5, v[26:27], v[6:7]
	v_add_f64 v[32:33], v[110:111], -v[130:131]
	v_fmac_f64_e32 v[116:117], s[4:5], v[86:87]
	v_fmac_f64_e32 v[4:5], s[4:5], v[86:87]
	;; [unrolled: 28-line block ×3, first 2 shown]
	v_fma_f64 v[32:33], s[12:13], v[86:87], v[120:121]
	v_add_f64 v[88:89], v[74:75], -v[78:79]
	v_add_f64 v[90:91], v[76:77], -v[80:81]
	;; [unrolled: 1-line block ×3, first 2 shown]
	v_fmac_f64_e32 v[120:121], s[2:3], v[86:87]
	v_fmac_f64_e32 v[32:33], s[10:11], v[88:89]
	v_add_f64 v[90:91], v[90:91], v[92:93]
	v_fmac_f64_e32 v[120:121], s[8:9], v[88:89]
	v_fmac_f64_e32 v[32:33], s[4:5], v[90:91]
	;; [unrolled: 1-line block ×3, first 2 shown]
	v_add_f64 v[90:91], v[76:77], v[34:35]
	v_fmac_f64_e32 v[0:1], -0.5, v[90:91]
	v_fma_f64 v[132:133], s[2:3], v[88:89], v[0:1]
	v_fmac_f64_e32 v[0:1], s[12:13], v[88:89]
	v_fmac_f64_e32 v[132:133], s[10:11], v[86:87]
	v_fmac_f64_e32 v[0:1], s[8:9], v[86:87]
	v_add_f64 v[86:87], v[2:3], v[72:73]
	v_add_f64 v[86:87], v[86:87], v[74:75]
	;; [unrolled: 1-line block ×5, first 2 shown]
	v_add_f64 v[90:91], v[80:81], -v[76:77]
	v_fma_f64 v[122:123], -0.5, v[86:87], v[2:3]
	v_add_f64 v[76:77], v[76:77], -v[34:35]
	v_add_f64 v[92:93], v[84:85], -v[34:35]
	v_fma_f64 v[34:35], s[2:3], v[76:77], v[122:123]
	v_add_f64 v[80:81], v[80:81], -v[84:85]
	v_add_f64 v[84:85], v[72:73], -v[74:75]
	;; [unrolled: 1-line block ×3, first 2 shown]
	v_fmac_f64_e32 v[122:123], s[12:13], v[76:77]
	v_fmac_f64_e32 v[34:35], s[8:9], v[80:81]
	v_add_f64 v[84:85], v[84:85], v[86:87]
	v_fmac_f64_e32 v[122:123], s[10:11], v[80:81]
	v_fmac_f64_e32 v[34:35], s[4:5], v[84:85]
	;; [unrolled: 1-line block ×3, first 2 shown]
	v_add_f64 v[84:85], v[72:73], v[82:83]
	v_fmac_f64_e32 v[2:3], -0.5, v[84:85]
	v_fma_f64 v[134:135], s[12:13], v[80:81], v[2:3]
	v_add_f64 v[72:73], v[74:75], -v[72:73]
	v_add_f64 v[74:75], v[78:79], -v[82:83]
	v_fmac_f64_e32 v[2:3], s[2:3], v[80:81]
	v_add_f64 v[90:91], v[90:91], v[92:93]
	v_add_f64 v[72:73], v[72:73], v[74:75]
	v_fmac_f64_e32 v[2:3], s[10:11], v[76:77]
	v_fmac_f64_e32 v[0:1], s[4:5], v[90:91]
	;; [unrolled: 1-line block ×6, first 2 shown]
	s_waitcnt vmcnt(0)
	ds_write_b128 v8, v[40:43] offset:20000
	ds_write_b128 v8, v[36:39] offset:22000
	;; [unrolled: 1-line block ×15, first 2 shown]
	s_waitcnt lgkmcnt(0)
	s_barrier
	ds_read_b128 v[0:3], v228
	ds_read_b128 v[36:39], v228 offset:10000
	ds_read_b128 v[28:31], v228 offset:20000
	;; [unrolled: 1-line block ×24, first 2 shown]
	s_waitcnt lgkmcnt(14)
	v_mul_f64 v[122:123], v[224:225], v[38:39]
	v_accvgpr_read_b32 v103, a11
	v_fmac_f64_e32 v[122:123], v[222:223], v[36:37]
	v_mul_f64 v[36:37], v[224:225], v[36:37]
	v_accvgpr_read_b32 v102, a10
	v_fma_f64 v[36:37], v[222:223], v[38:39], -v[36:37]
	v_accvgpr_read_b32 v101, a9
	v_accvgpr_read_b32 v100, a8
	v_mul_f64 v[38:39], v[102:103], v[30:31]
	v_fmac_f64_e32 v[38:39], v[100:101], v[28:29]
	v_mul_f64 v[28:29], v[102:103], v[28:29]
	v_fma_f64 v[124:125], v[100:101], v[30:31], -v[28:29]
	v_accvgpr_read_b32 v31, a7
	v_accvgpr_read_b32 v30, a6
	;; [unrolled: 1-line block ×4, first 2 shown]
	v_mul_f64 v[126:127], v[30:31], v[26:27]
	v_fmac_f64_e32 v[126:127], v[28:29], v[24:25]
	v_mul_f64 v[24:25], v[30:31], v[24:25]
	v_fma_f64 v[128:129], v[28:29], v[26:27], -v[24:25]
	v_accvgpr_read_b32 v27, a3
	v_accvgpr_read_b32 v26, a2
	;; [unrolled: 1-line block ×4, first 2 shown]
	v_mul_f64 v[30:31], v[26:27], v[22:23]
	v_fmac_f64_e32 v[30:31], v[24:25], v[20:21]
	v_mul_f64 v[20:21], v[26:27], v[20:21]
	v_fma_f64 v[130:131], v[24:25], v[22:23], -v[20:21]
	v_mul_f64 v[118:119], v[208:209], v[62:63]
	v_mul_f64 v[20:21], v[208:209], v[60:61]
	v_fmac_f64_e32 v[118:119], v[206:207], v[60:61]
	v_fma_f64 v[60:61], v[206:207], v[62:63], -v[20:21]
	v_mul_f64 v[20:21], v[212:213], v[72:73]
	v_fma_f64 v[114:115], v[210:211], v[74:75], -v[20:21]
	v_mul_f64 v[20:21], v[216:217], v[76:77]
	;; [unrolled: 2-line block ×3, first 2 shown]
	v_mul_f64 v[136:137], v[220:221], v[70:71]
	v_fma_f64 v[120:121], v[218:219], v[70:71], -v[20:21]
	s_waitcnt lgkmcnt(13)
	v_mul_f64 v[20:21], v[192:193], v[80:81]
	v_fmac_f64_e32 v[136:137], v[218:219], v[68:69]
	v_fma_f64 v[68:69], v[190:191], v[82:83], -v[20:21]
	s_waitcnt lgkmcnt(12)
	v_mul_f64 v[20:21], v[196:197], v[84:85]
	v_mul_f64 v[132:133], v[212:213], v[74:75]
	v_fma_f64 v[70:71], v[194:195], v[86:87], -v[20:21]
	s_waitcnt lgkmcnt(11)
	v_mul_f64 v[20:21], v[200:201], v[88:89]
	v_fmac_f64_e32 v[132:133], v[210:211], v[72:73]
	v_fma_f64 v[72:73], v[198:199], v[90:91], -v[20:21]
	s_waitcnt lgkmcnt(10)
	v_mul_f64 v[20:21], v[204:205], v[92:93]
	v_mul_f64 v[134:135], v[216:217], v[78:79]
	v_fma_f64 v[74:75], v[202:203], v[94:95], -v[20:21]
	s_waitcnt lgkmcnt(8)
	v_mul_f64 v[78:79], v[170:171], v[98:99]
	v_mul_f64 v[20:21], v[170:171], v[96:97]
	v_fmac_f64_e32 v[78:79], v[168:169], v[96:97]
	v_fma_f64 v[96:97], v[168:169], v[98:99], -v[20:21]
	s_waitcnt lgkmcnt(7)
	v_mul_f64 v[20:21], v[180:181], v[64:65]
	v_fma_f64 v[98:99], v[178:179], v[66:67], -v[20:21]
	s_waitcnt lgkmcnt(6)
	v_mul_f64 v[20:21], v[184:185], v[56:57]
	;; [unrolled: 3-line block ×3, first 2 shown]
	v_mul_f64 v[62:63], v[192:193], v[82:83]
	v_fma_f64 v[102:103], v[186:187], v[50:51], -v[20:21]
	s_waitcnt lgkmcnt(3)
	v_mul_f64 v[20:21], v[154:155], v[52:53]
	v_fmac_f64_e32 v[62:63], v[190:191], v[80:81]
	v_fma_f64 v[80:81], v[152:153], v[54:55], -v[20:21]
	s_waitcnt lgkmcnt(2)
	v_mul_f64 v[20:21], v[158:159], v[44:45]
	v_fmac_f64_e32 v[134:135], v[214:215], v[76:77]
	v_mul_f64 v[76:77], v[196:197], v[86:87]
	v_fma_f64 v[82:83], v[156:157], v[46:47], -v[20:21]
	s_waitcnt lgkmcnt(1)
	v_mul_f64 v[20:21], v[162:163], v[40:41]
	v_fmac_f64_e32 v[76:77], v[194:195], v[84:85]
	v_fma_f64 v[84:85], v[160:161], v[42:43], -v[20:21]
	s_waitcnt lgkmcnt(0)
	v_mul_f64 v[20:21], v[166:167], v[32:33]
	v_fma_f64 v[86:87], v[164:165], v[34:35], -v[20:21]
	v_add_f64 v[20:21], v[0:1], v[122:123]
	v_add_f64 v[20:21], v[20:21], v[38:39]
	;; [unrolled: 1-line block ×5, first 2 shown]
	v_mul_f64 v[112:113], v[204:205], v[94:95]
	v_mul_f64 v[94:95], v[166:167], v[34:35]
	v_fma_f64 v[20:21], -0.5, v[20:21], v[0:1]
	v_add_f64 v[22:23], v[36:37], -v[130:131]
	v_fmac_f64_e32 v[94:95], v[164:165], v[32:33]
	v_fma_f64 v[28:29], s[12:13], v[22:23], v[20:21]
	v_add_f64 v[26:27], v[124:125], -v[128:129]
	v_add_f64 v[32:33], v[122:123], -v[38:39]
	;; [unrolled: 1-line block ×3, first 2 shown]
	v_fmac_f64_e32 v[20:21], s[2:3], v[22:23]
	v_fmac_f64_e32 v[28:29], s[10:11], v[26:27]
	v_add_f64 v[32:33], v[32:33], v[34:35]
	v_fmac_f64_e32 v[20:21], s[8:9], v[26:27]
	v_fmac_f64_e32 v[28:29], s[4:5], v[32:33]
	;; [unrolled: 1-line block ×3, first 2 shown]
	v_add_f64 v[32:33], v[122:123], v[30:31]
	v_fmac_f64_e32 v[0:1], -0.5, v[32:33]
	v_fma_f64 v[32:33], s[2:3], v[26:27], v[0:1]
	v_fmac_f64_e32 v[0:1], s[12:13], v[26:27]
	v_fmac_f64_e32 v[32:33], s[10:11], v[22:23]
	;; [unrolled: 1-line block ×3, first 2 shown]
	v_add_f64 v[22:23], v[2:3], v[36:37]
	v_add_f64 v[22:23], v[22:23], v[124:125]
	v_fmac_f64_e32 v[112:113], v[202:203], v[92:93]
	v_mul_f64 v[92:93], v[162:163], v[42:43]
	v_add_f64 v[22:23], v[22:23], v[128:129]
	v_fmac_f64_e32 v[92:93], v[160:161], v[40:41]
	v_add_f64 v[34:35], v[38:39], -v[122:123]
	v_add_f64 v[40:41], v[126:127], -v[30:31]
	v_add_f64 v[26:27], v[22:23], v[130:131]
	v_add_f64 v[22:23], v[124:125], v[128:129]
	;; [unrolled: 1-line block ×3, first 2 shown]
	v_fma_f64 v[22:23], -0.5, v[22:23], v[2:3]
	v_add_f64 v[40:41], v[122:123], -v[30:31]
	v_fmac_f64_e32 v[32:33], s[4:5], v[34:35]
	v_fmac_f64_e32 v[0:1], s[4:5], v[34:35]
	v_fma_f64 v[30:31], s[2:3], v[40:41], v[22:23]
	v_add_f64 v[38:39], v[38:39], -v[126:127]
	v_add_f64 v[34:35], v[36:37], -v[124:125]
	;; [unrolled: 1-line block ×3, first 2 shown]
	v_fmac_f64_e32 v[22:23], s[12:13], v[40:41]
	v_fmac_f64_e32 v[30:31], s[8:9], v[38:39]
	v_add_f64 v[34:35], v[34:35], v[42:43]
	v_fmac_f64_e32 v[22:23], s[10:11], v[38:39]
	v_fmac_f64_e32 v[30:31], s[4:5], v[34:35]
	;; [unrolled: 1-line block ×3, first 2 shown]
	v_add_f64 v[34:35], v[36:37], v[130:131]
	v_fmac_f64_e32 v[2:3], -0.5, v[34:35]
	v_fma_f64 v[34:35], s[12:13], v[38:39], v[2:3]
	v_add_f64 v[36:37], v[124:125], -v[36:37]
	v_add_f64 v[42:43], v[128:129], -v[130:131]
	v_fmac_f64_e32 v[2:3], s[2:3], v[38:39]
	v_fmac_f64_e32 v[34:35], s[8:9], v[40:41]
	v_add_f64 v[36:37], v[36:37], v[42:43]
	v_fmac_f64_e32 v[2:3], s[10:11], v[40:41]
	v_fmac_f64_e32 v[34:35], s[4:5], v[36:37]
	;; [unrolled: 1-line block ×3, first 2 shown]
	v_add_f64 v[36:37], v[4:5], v[118:119]
	v_add_f64 v[36:37], v[36:37], v[132:133]
	;; [unrolled: 1-line block ×5, first 2 shown]
	v_mul_f64 v[110:111], v[200:201], v[90:91]
	v_mul_f64 v[108:109], v[188:189], v[50:51]
	;; [unrolled: 1-line block ×3, first 2 shown]
	v_fma_f64 v[36:37], -0.5, v[36:37], v[4:5]
	v_add_f64 v[38:39], v[60:61], -v[120:121]
	v_fmac_f64_e32 v[108:109], v[186:187], v[48:49]
	v_fmac_f64_e32 v[90:91], v[156:157], v[44:45]
	v_fma_f64 v[44:45], s[12:13], v[38:39], v[36:37]
	v_add_f64 v[42:43], v[114:115], -v[116:117]
	v_add_f64 v[46:47], v[118:119], -v[132:133]
	;; [unrolled: 1-line block ×3, first 2 shown]
	v_fmac_f64_e32 v[36:37], s[2:3], v[38:39]
	v_fmac_f64_e32 v[44:45], s[10:11], v[42:43]
	v_add_f64 v[46:47], v[46:47], v[48:49]
	v_fmac_f64_e32 v[36:37], s[8:9], v[42:43]
	v_fmac_f64_e32 v[44:45], s[4:5], v[46:47]
	;; [unrolled: 1-line block ×3, first 2 shown]
	v_add_f64 v[46:47], v[118:119], v[136:137]
	v_fmac_f64_e32 v[4:5], -0.5, v[46:47]
	v_fma_f64 v[48:49], s[2:3], v[42:43], v[4:5]
	v_fmac_f64_e32 v[4:5], s[12:13], v[42:43]
	v_fmac_f64_e32 v[48:49], s[10:11], v[38:39]
	;; [unrolled: 1-line block ×3, first 2 shown]
	v_add_f64 v[38:39], v[6:7], v[60:61]
	v_add_f64 v[38:39], v[38:39], v[114:115]
	v_add_f64 v[38:39], v[38:39], v[116:117]
	v_fmac_f64_e32 v[110:111], v[198:199], v[88:89]
	v_mul_f64 v[88:89], v[154:155], v[54:55]
	v_add_f64 v[46:47], v[132:133], -v[118:119]
	v_add_f64 v[50:51], v[134:135], -v[136:137]
	v_add_f64 v[42:43], v[38:39], v[120:121]
	v_add_f64 v[38:39], v[114:115], v[116:117]
	v_mul_f64 v[106:107], v[184:185], v[58:59]
	v_fmac_f64_e32 v[88:89], v[152:153], v[52:53]
	v_add_f64 v[46:47], v[46:47], v[50:51]
	v_fma_f64 v[38:39], -0.5, v[38:39], v[6:7]
	v_add_f64 v[52:53], v[118:119], -v[136:137]
	v_fmac_f64_e32 v[106:107], v[182:183], v[56:57]
	v_fmac_f64_e32 v[48:49], s[4:5], v[46:47]
	;; [unrolled: 1-line block ×3, first 2 shown]
	v_fma_f64 v[46:47], s[2:3], v[52:53], v[38:39]
	v_add_f64 v[54:55], v[132:133], -v[134:135]
	v_add_f64 v[50:51], v[60:61], -v[114:115]
	;; [unrolled: 1-line block ×3, first 2 shown]
	v_fmac_f64_e32 v[38:39], s[12:13], v[52:53]
	v_fmac_f64_e32 v[46:47], s[8:9], v[54:55]
	v_add_f64 v[50:51], v[50:51], v[56:57]
	v_fmac_f64_e32 v[38:39], s[10:11], v[54:55]
	v_fmac_f64_e32 v[46:47], s[4:5], v[50:51]
	;; [unrolled: 1-line block ×3, first 2 shown]
	v_add_f64 v[50:51], v[60:61], v[120:121]
	v_fmac_f64_e32 v[6:7], -0.5, v[50:51]
	v_fma_f64 v[50:51], s[12:13], v[54:55], v[6:7]
	v_fmac_f64_e32 v[6:7], s[2:3], v[54:55]
	v_fmac_f64_e32 v[50:51], s[8:9], v[52:53]
	;; [unrolled: 1-line block ×3, first 2 shown]
	v_add_f64 v[52:53], v[12:13], v[62:63]
	v_add_f64 v[56:57], v[114:115], -v[60:61]
	v_add_f64 v[58:59], v[116:117], -v[120:121]
	v_add_f64 v[52:53], v[52:53], v[76:77]
	v_add_f64 v[56:57], v[56:57], v[58:59]
	;; [unrolled: 1-line block ×3, first 2 shown]
	v_fmac_f64_e32 v[50:51], s[4:5], v[56:57]
	v_fmac_f64_e32 v[6:7], s[4:5], v[56:57]
	v_add_f64 v[56:57], v[52:53], v[112:113]
	v_add_f64 v[52:53], v[76:77], v[110:111]
	v_mul_f64 v[104:105], v[180:181], v[66:67]
	v_fma_f64 v[52:53], -0.5, v[52:53], v[12:13]
	v_add_f64 v[54:55], v[68:69], -v[74:75]
	v_fmac_f64_e32 v[104:105], v[178:179], v[64:65]
	v_fma_f64 v[60:61], s[12:13], v[54:55], v[52:53]
	v_add_f64 v[58:59], v[70:71], -v[72:73]
	v_add_f64 v[64:65], v[62:63], -v[76:77]
	;; [unrolled: 1-line block ×3, first 2 shown]
	v_fmac_f64_e32 v[52:53], s[2:3], v[54:55]
	v_fmac_f64_e32 v[60:61], s[10:11], v[58:59]
	v_add_f64 v[64:65], v[64:65], v[66:67]
	v_fmac_f64_e32 v[52:53], s[8:9], v[58:59]
	v_fmac_f64_e32 v[60:61], s[4:5], v[64:65]
	;; [unrolled: 1-line block ×3, first 2 shown]
	v_add_f64 v[64:65], v[62:63], v[112:113]
	v_fmac_f64_e32 v[12:13], -0.5, v[64:65]
	v_fma_f64 v[64:65], s[2:3], v[58:59], v[12:13]
	v_fmac_f64_e32 v[12:13], s[12:13], v[58:59]
	v_fmac_f64_e32 v[64:65], s[10:11], v[54:55]
	;; [unrolled: 1-line block ×3, first 2 shown]
	v_add_f64 v[54:55], v[14:15], v[68:69]
	v_add_f64 v[54:55], v[54:55], v[70:71]
	;; [unrolled: 1-line block ×3, first 2 shown]
	v_add_f64 v[66:67], v[76:77], -v[62:63]
	v_add_f64 v[114:115], v[110:111], -v[112:113]
	v_add_f64 v[58:59], v[54:55], v[74:75]
	v_add_f64 v[54:55], v[70:71], v[72:73]
	;; [unrolled: 1-line block ×3, first 2 shown]
	v_fma_f64 v[54:55], -0.5, v[54:55], v[14:15]
	v_add_f64 v[112:113], v[62:63], -v[112:113]
	v_fmac_f64_e32 v[64:65], s[4:5], v[66:67]
	v_fmac_f64_e32 v[12:13], s[4:5], v[66:67]
	v_fma_f64 v[62:63], s[2:3], v[112:113], v[54:55]
	v_add_f64 v[76:77], v[76:77], -v[110:111]
	v_add_f64 v[66:67], v[68:69], -v[70:71]
	v_add_f64 v[110:111], v[74:75], -v[72:73]
	v_fmac_f64_e32 v[54:55], s[12:13], v[112:113]
	v_fmac_f64_e32 v[62:63], s[8:9], v[76:77]
	v_add_f64 v[66:67], v[66:67], v[110:111]
	v_fmac_f64_e32 v[54:55], s[10:11], v[76:77]
	v_fmac_f64_e32 v[62:63], s[4:5], v[66:67]
	v_fmac_f64_e32 v[54:55], s[4:5], v[66:67]
	v_add_f64 v[66:67], v[68:69], v[74:75]
	v_fmac_f64_e32 v[14:15], -0.5, v[66:67]
	v_fma_f64 v[66:67], s[12:13], v[76:77], v[14:15]
	v_add_f64 v[68:69], v[70:71], -v[68:69]
	v_add_f64 v[70:71], v[72:73], -v[74:75]
	v_fmac_f64_e32 v[14:15], s[2:3], v[76:77]
	v_fmac_f64_e32 v[66:67], s[8:9], v[112:113]
	v_add_f64 v[68:69], v[68:69], v[70:71]
	v_fmac_f64_e32 v[14:15], s[10:11], v[112:113]
	v_fmac_f64_e32 v[66:67], s[4:5], v[68:69]
	;; [unrolled: 1-line block ×3, first 2 shown]
	v_add_f64 v[68:69], v[16:17], v[78:79]
	v_add_f64 v[68:69], v[68:69], v[104:105]
	;; [unrolled: 1-line block ×5, first 2 shown]
	v_fma_f64 v[68:69], -0.5, v[68:69], v[16:17]
	v_add_f64 v[70:71], v[96:97], -v[102:103]
	v_fma_f64 v[76:77], s[12:13], v[70:71], v[68:69]
	v_add_f64 v[74:75], v[98:99], -v[100:101]
	v_add_f64 v[110:111], v[78:79], -v[104:105]
	;; [unrolled: 1-line block ×3, first 2 shown]
	v_fmac_f64_e32 v[68:69], s[2:3], v[70:71]
	v_fmac_f64_e32 v[76:77], s[10:11], v[74:75]
	v_add_f64 v[110:111], v[110:111], v[112:113]
	v_fmac_f64_e32 v[68:69], s[8:9], v[74:75]
	v_fmac_f64_e32 v[76:77], s[4:5], v[110:111]
	;; [unrolled: 1-line block ×3, first 2 shown]
	v_add_f64 v[110:111], v[78:79], v[108:109]
	v_fmac_f64_e32 v[16:17], -0.5, v[110:111]
	v_fma_f64 v[110:111], s[2:3], v[74:75], v[16:17]
	v_fmac_f64_e32 v[16:17], s[12:13], v[74:75]
	v_fmac_f64_e32 v[110:111], s[10:11], v[70:71]
	;; [unrolled: 1-line block ×3, first 2 shown]
	v_add_f64 v[70:71], v[18:19], v[96:97]
	v_add_f64 v[70:71], v[70:71], v[98:99]
	v_add_f64 v[70:71], v[70:71], v[100:101]
	v_add_f64 v[112:113], v[104:105], -v[78:79]
	v_add_f64 v[114:115], v[106:107], -v[108:109]
	v_add_f64 v[74:75], v[70:71], v[102:103]
	v_add_f64 v[70:71], v[98:99], v[100:101]
	;; [unrolled: 1-line block ×3, first 2 shown]
	v_fma_f64 v[70:71], -0.5, v[70:71], v[18:19]
	v_add_f64 v[108:109], v[78:79], -v[108:109]
	v_fmac_f64_e32 v[110:111], s[4:5], v[112:113]
	v_fmac_f64_e32 v[16:17], s[4:5], v[112:113]
	v_fma_f64 v[78:79], s[2:3], v[108:109], v[70:71]
	v_add_f64 v[104:105], v[104:105], -v[106:107]
	v_add_f64 v[106:107], v[96:97], -v[98:99]
	;; [unrolled: 1-line block ×3, first 2 shown]
	v_fmac_f64_e32 v[70:71], s[12:13], v[108:109]
	v_fmac_f64_e32 v[78:79], s[8:9], v[104:105]
	v_add_f64 v[106:107], v[106:107], v[112:113]
	v_fmac_f64_e32 v[70:71], s[10:11], v[104:105]
	v_fmac_f64_e32 v[78:79], s[4:5], v[106:107]
	;; [unrolled: 1-line block ×3, first 2 shown]
	v_add_f64 v[106:107], v[96:97], v[102:103]
	v_add_f64 v[96:97], v[98:99], -v[96:97]
	v_add_f64 v[98:99], v[100:101], -v[102:103]
	v_fmac_f64_e32 v[18:19], -0.5, v[106:107]
	v_add_f64 v[96:97], v[96:97], v[98:99]
	v_add_f64 v[98:99], v[90:91], v[92:93]
	v_fma_f64 v[112:113], s[12:13], v[104:105], v[18:19]
	v_fmac_f64_e32 v[18:19], s[2:3], v[104:105]
	v_fma_f64 v[100:101], -0.5, v[98:99], v[8:9]
	v_add_f64 v[98:99], v[80:81], -v[86:87]
	v_fmac_f64_e32 v[112:113], s[8:9], v[108:109]
	v_fmac_f64_e32 v[18:19], s[10:11], v[108:109]
	v_fma_f64 v[104:105], s[12:13], v[98:99], v[100:101]
	v_add_f64 v[102:103], v[82:83], -v[84:85]
	v_add_f64 v[106:107], v[88:89], -v[90:91]
	;; [unrolled: 1-line block ×3, first 2 shown]
	v_fmac_f64_e32 v[100:101], s[2:3], v[98:99]
	v_fmac_f64_e32 v[104:105], s[10:11], v[102:103]
	v_add_f64 v[106:107], v[106:107], v[108:109]
	v_fmac_f64_e32 v[100:101], s[8:9], v[102:103]
	v_fmac_f64_e32 v[104:105], s[4:5], v[106:107]
	;; [unrolled: 1-line block ×3, first 2 shown]
	v_add_f64 v[106:107], v[88:89], v[94:95]
	v_fmac_f64_e32 v[112:113], s[4:5], v[96:97]
	v_fmac_f64_e32 v[18:19], s[4:5], v[96:97]
	v_add_f64 v[96:97], v[8:9], v[88:89]
	v_fmac_f64_e32 v[8:9], -0.5, v[106:107]
	v_add_f64 v[96:97], v[96:97], v[90:91]
	v_fma_f64 v[114:115], s[2:3], v[102:103], v[8:9]
	v_add_f64 v[106:107], v[90:91], -v[88:89]
	v_add_f64 v[108:109], v[92:93], -v[94:95]
	v_fmac_f64_e32 v[8:9], s[12:13], v[102:103]
	v_add_f64 v[102:103], v[82:83], v[84:85]
	v_add_f64 v[96:97], v[96:97], v[92:93]
	v_fmac_f64_e32 v[114:115], s[10:11], v[98:99]
	v_add_f64 v[106:107], v[106:107], v[108:109]
	v_fmac_f64_e32 v[8:9], s[8:9], v[98:99]
	v_fma_f64 v[102:103], -0.5, v[102:103], v[10:11]
	v_add_f64 v[88:89], v[88:89], -v[94:95]
	v_add_f64 v[96:97], v[96:97], v[94:95]
	v_fmac_f64_e32 v[114:115], s[4:5], v[106:107]
	v_fmac_f64_e32 v[8:9], s[4:5], v[106:107]
	v_fma_f64 v[106:107], s[2:3], v[88:89], v[102:103]
	v_add_f64 v[90:91], v[90:91], -v[92:93]
	v_add_f64 v[92:93], v[80:81], -v[82:83]
	;; [unrolled: 1-line block ×3, first 2 shown]
	v_fmac_f64_e32 v[102:103], s[12:13], v[88:89]
	v_fmac_f64_e32 v[106:107], s[8:9], v[90:91]
	v_add_f64 v[92:93], v[92:93], v[94:95]
	v_fmac_f64_e32 v[102:103], s[10:11], v[90:91]
	v_fmac_f64_e32 v[106:107], s[4:5], v[92:93]
	;; [unrolled: 1-line block ×3, first 2 shown]
	v_add_f64 v[92:93], v[80:81], v[86:87]
	v_add_f64 v[98:99], v[10:11], v[80:81]
	v_fmac_f64_e32 v[10:11], -0.5, v[92:93]
	v_add_f64 v[98:99], v[98:99], v[82:83]
	v_fma_f64 v[116:117], s[12:13], v[90:91], v[10:11]
	v_add_f64 v[80:81], v[82:83], -v[80:81]
	v_add_f64 v[82:83], v[84:85], -v[86:87]
	v_fmac_f64_e32 v[10:11], s[2:3], v[90:91]
	v_add_f64 v[98:99], v[98:99], v[84:85]
	v_fmac_f64_e32 v[116:117], s[8:9], v[88:89]
	v_add_f64 v[80:81], v[80:81], v[82:83]
	v_fmac_f64_e32 v[10:11], s[10:11], v[88:89]
	v_add_f64 v[98:99], v[98:99], v[86:87]
	v_fmac_f64_e32 v[116:117], s[4:5], v[80:81]
	v_fmac_f64_e32 v[10:11], s[4:5], v[80:81]
	ds_write_b128 v228, v[24:27]
	ds_write_b128 v228, v[28:31] offset:10000
	ds_write_b128 v228, v[32:35] offset:20000
	ds_write_b128 v228, v[0:3] offset:30000
	ds_write_b128 v228, v[20:23] offset:40000
	ds_write_b128 v228, v[40:43] offset:2000
	ds_write_b128 v228, v[44:47] offset:12000
	ds_write_b128 v228, v[48:51] offset:22000
	ds_write_b128 v228, v[4:7] offset:32000
	ds_write_b128 v228, v[36:39] offset:42000
	ds_write_b128 v228, v[56:59] offset:4000
	ds_write_b128 v228, v[60:63] offset:14000
	ds_write_b128 v228, v[64:67] offset:24000
	ds_write_b128 v228, v[12:15] offset:34000
	ds_write_b128 v228, v[52:55] offset:44000
	ds_write_b128 v228, v[72:75] offset:6000
	ds_write_b128 v228, v[76:79] offset:16000
	ds_write_b128 v228, v[110:113] offset:26000
	ds_write_b128 v228, v[16:19] offset:36000
	ds_write_b128 v228, v[68:71] offset:46000
	ds_write_b128 v228, v[96:99] offset:8000
	ds_write_b128 v228, v[104:107] offset:18000
	ds_write_b128 v228, v[114:117] offset:28000
	ds_write_b128 v228, v[8:11] offset:38000
	ds_write_b128 v228, v[100:103] offset:48000
	s_waitcnt lgkmcnt(0)
	s_barrier
	scratch_load_dwordx4 v[6:9], off, off offset:60 ; 16-byte Folded Reload
	ds_read_b128 v[0:3], v228
	s_mov_b32 s2, 0x88e368f1
	s_mov_b32 s3, 0x3f34f8b5
	s_waitcnt vmcnt(0) lgkmcnt(0)
	v_mul_f64 v[4:5], v[8:9], v[2:3]
	v_fmac_f64_e32 v[4:5], v[6:7], v[0:1]
	v_mul_f64 v[0:1], v[8:9], v[0:1]
	v_fma_f64 v[0:1], v[6:7], v[2:3], -v[0:1]
	v_mul_f64 v[6:7], v[0:1], s[2:3]
	v_mad_u64_u32 v[0:1], s[4:5], s0, v176, 0
	v_mov_b32_e32 v2, v1
	v_mad_u64_u32 v[2:3], s[4:5], s1, v176, v[2:3]
	v_mov_b32_e32 v1, v2
	scratch_load_dwordx2 v[2:3], off, off offset:28 ; 8-byte Folded Reload
	scratch_load_dwordx2 v[8:9], off, off offset:36 ; 8-byte Folded Reload
	scratch_load_dwordx4 v[10:13], off, off offset:92 ; 16-byte Folded Reload
	v_mul_f64 v[4:5], v[4:5], s[2:3]
	s_waitcnt vmcnt(1)
	v_lshl_add_u64 v[2:3], v[8:9], 4, v[2:3]
	v_lshl_add_u64 v[8:9], v[0:1], 4, v[2:3]
	ds_read_b128 v[0:3], v228 offset:10000
	global_store_dwordx4 v[8:9], v[4:7], off
	v_mad_u64_u32 v[8:9], s[4:5], s0, v142, v[8:9]
	s_mul_i32 s4, s1, 0x2710
	s_waitcnt vmcnt(1) lgkmcnt(0)
	v_mul_f64 v[4:5], v[12:13], v[2:3]
	v_fmac_f64_e32 v[4:5], v[10:11], v[0:1]
	v_mul_f64 v[0:1], v[12:13], v[0:1]
	v_fma_f64 v[0:1], v[10:11], v[2:3], -v[0:1]
	scratch_load_dwordx4 v[10:13], off, off offset:200 ; 16-byte Folded Reload
	v_mul_f64 v[6:7], v[0:1], s[2:3]
	ds_read_b128 v[0:3], v228 offset:20000
	v_mul_f64 v[4:5], v[4:5], s[2:3]
	v_add_u32_e32 v9, s4, v9
	global_store_dwordx4 v[8:9], v[4:7], off
	v_mad_u64_u32 v[8:9], s[6:7], s0, v142, v[8:9]
	v_add_u32_e32 v9, s4, v9
	s_mul_i32 s1, s1, 0xffff6b90
	s_sub_i32 s1, s1, s0
	s_waitcnt vmcnt(1) lgkmcnt(0)
	v_mul_f64 v[4:5], v[12:13], v[2:3]
	v_fmac_f64_e32 v[4:5], v[10:11], v[0:1]
	v_mul_f64 v[0:1], v[12:13], v[0:1]
	v_fma_f64 v[0:1], v[10:11], v[2:3], -v[0:1]
	v_mul_f64 v[6:7], v[0:1], s[2:3]
	ds_read_b128 v[0:3], v228 offset:30000
	v_accvgpr_read_b32 v10, a88
	v_mul_f64 v[4:5], v[4:5], s[2:3]
	v_accvgpr_read_b32 v12, a90
	v_accvgpr_read_b32 v13, a91
	global_store_dwordx4 v[8:9], v[4:7], off
	v_accvgpr_read_b32 v11, a89
	v_mad_u64_u32 v[8:9], s[6:7], s0, v142, v[8:9]
	s_waitcnt lgkmcnt(0)
	v_mul_f64 v[4:5], v[12:13], v[2:3]
	v_fmac_f64_e32 v[4:5], v[10:11], v[0:1]
	v_mul_f64 v[0:1], v[12:13], v[0:1]
	v_fma_f64 v[0:1], v[10:11], v[2:3], -v[0:1]
	v_mul_f64 v[6:7], v[0:1], s[2:3]
	ds_read_b128 v[0:3], v228 offset:40000
	v_accvgpr_read_b32 v10, a100
	v_mul_f64 v[4:5], v[4:5], s[2:3]
	v_add_u32_e32 v9, s4, v9
	v_accvgpr_read_b32 v12, a102
	v_accvgpr_read_b32 v13, a103
	global_store_dwordx4 v[8:9], v[4:7], off
	v_accvgpr_read_b32 v11, a101
	v_mad_u64_u32 v[8:9], s[6:7], s0, v142, v[8:9]
	s_waitcnt lgkmcnt(0)
	v_mul_f64 v[4:5], v[12:13], v[2:3]
	v_fmac_f64_e32 v[4:5], v[10:11], v[0:1]
	v_mul_f64 v[0:1], v[12:13], v[0:1]
	v_fma_f64 v[0:1], v[10:11], v[2:3], -v[0:1]
	scratch_load_dwordx4 v[10:13], off, off offset:44 ; 16-byte Folded Reload
	v_mul_f64 v[6:7], v[0:1], s[2:3]
	ds_read_b128 v[0:3], v228 offset:2000
	v_mul_f64 v[4:5], v[4:5], s[2:3]
	v_add_u32_e32 v9, s4, v9
	global_store_dwordx4 v[8:9], v[4:7], off
	s_waitcnt vmcnt(1) lgkmcnt(0)
	s_nop 0
	v_mul_f64 v[4:5], v[12:13], v[2:3]
	v_fmac_f64_e32 v[4:5], v[10:11], v[0:1]
	v_mul_f64 v[0:1], v[12:13], v[0:1]
	scratch_load_dwordx4 v[12:15], off, off offset:76 ; 16-byte Folded Reload
	v_fma_f64 v[0:1], v[10:11], v[2:3], -v[0:1]
	v_mul_f64 v[6:7], v[0:1], s[2:3]
	ds_read_b128 v[0:3], v228 offset:12000
	v_mov_b32_e32 v10, 0xffff6b90
	v_mad_u64_u32 v[8:9], s[6:7], s0, v10, v[8:9]
	v_mul_f64 v[4:5], v[4:5], s[2:3]
	v_add_u32_e32 v9, s1, v9
	global_store_dwordx4 v[8:9], v[4:7], off
	v_mad_u64_u32 v[8:9], s[6:7], s0, v142, v[8:9]
	v_add_u32_e32 v9, s4, v9
	s_waitcnt vmcnt(1) lgkmcnt(0)
	v_mul_f64 v[4:5], v[14:15], v[2:3]
	v_fmac_f64_e32 v[4:5], v[12:13], v[0:1]
	v_mul_f64 v[0:1], v[14:15], v[0:1]
	v_fma_f64 v[0:1], v[12:13], v[2:3], -v[0:1]
	scratch_load_dwordx4 v[12:15], off, off offset:124 ; 16-byte Folded Reload
	v_mul_f64 v[6:7], v[0:1], s[2:3]
	ds_read_b128 v[0:3], v228 offset:22000
	v_mul_f64 v[4:5], v[4:5], s[2:3]
	global_store_dwordx4 v[8:9], v[4:7], off
	v_mad_u64_u32 v[8:9], s[6:7], s0, v142, v[8:9]
	v_add_u32_e32 v9, s4, v9
	s_waitcnt vmcnt(1) lgkmcnt(0)
	v_mul_f64 v[4:5], v[14:15], v[2:3]
	v_fmac_f64_e32 v[4:5], v[12:13], v[0:1]
	v_mul_f64 v[0:1], v[14:15], v[0:1]
	v_fma_f64 v[0:1], v[12:13], v[2:3], -v[0:1]
	scratch_load_dwordx4 v[12:15], off, off offset:152 ; 16-byte Folded Reload
	v_mul_f64 v[6:7], v[0:1], s[2:3]
	ds_read_b128 v[0:3], v228 offset:32000
	v_mul_f64 v[4:5], v[4:5], s[2:3]
	;; [unrolled: 12-line block ×4, first 2 shown]
	global_store_dwordx4 v[8:9], v[4:7], off
	v_mad_u64_u32 v[8:9], s[6:7], s0, v10, v[8:9]
	v_add_u32_e32 v9, s1, v9
	v_mov_b32_e32 v10, 0xffff6b90
	s_waitcnt vmcnt(1) lgkmcnt(0)
	v_mul_f64 v[4:5], v[14:15], v[2:3]
	v_fmac_f64_e32 v[4:5], v[12:13], v[0:1]
	v_mul_f64 v[0:1], v[14:15], v[0:1]
	v_fma_f64 v[0:1], v[12:13], v[2:3], -v[0:1]
	scratch_load_dwordx4 v[12:15], off, off offset:216 ; 16-byte Folded Reload
	v_mul_f64 v[6:7], v[0:1], s[2:3]
	ds_read_b128 v[0:3], v228 offset:14000
	v_mul_f64 v[4:5], v[4:5], s[2:3]
	global_store_dwordx4 v[8:9], v[4:7], off
	v_mad_u64_u32 v[8:9], s[6:7], s0, v142, v[8:9]
	v_add_u32_e32 v9, s4, v9
	s_waitcnt vmcnt(1) lgkmcnt(0)
	v_mul_f64 v[4:5], v[14:15], v[2:3]
	v_fmac_f64_e32 v[4:5], v[12:13], v[0:1]
	v_mul_f64 v[0:1], v[14:15], v[0:1]
	v_fma_f64 v[0:1], v[12:13], v[2:3], -v[0:1]
	scratch_load_dwordx4 v[12:15], off, off offset:232 ; 16-byte Folded Reload
	v_mul_f64 v[6:7], v[0:1], s[2:3]
	ds_read_b128 v[0:3], v228 offset:24000
	v_mul_f64 v[4:5], v[4:5], s[2:3]
	global_store_dwordx4 v[8:9], v[4:7], off
	v_mad_u64_u32 v[8:9], s[6:7], s0, v142, v[8:9]
	v_add_u32_e32 v9, s4, v9
	s_waitcnt vmcnt(1) lgkmcnt(0)
	v_mul_f64 v[4:5], v[14:15], v[2:3]
	v_fmac_f64_e32 v[4:5], v[12:13], v[0:1]
	v_mul_f64 v[0:1], v[14:15], v[0:1]
	v_fma_f64 v[0:1], v[12:13], v[2:3], -v[0:1]
	v_mul_f64 v[6:7], v[0:1], s[2:3]
	ds_read_b128 v[0:3], v228 offset:34000
	v_accvgpr_read_b32 v12, a64
	v_mul_f64 v[4:5], v[4:5], s[2:3]
	v_accvgpr_read_b32 v14, a66
	v_accvgpr_read_b32 v15, a67
	global_store_dwordx4 v[8:9], v[4:7], off
	v_accvgpr_read_b32 v13, a65
	v_mad_u64_u32 v[8:9], s[6:7], s0, v142, v[8:9]
	s_waitcnt lgkmcnt(0)
	v_mul_f64 v[4:5], v[14:15], v[2:3]
	v_fmac_f64_e32 v[4:5], v[12:13], v[0:1]
	v_mul_f64 v[0:1], v[14:15], v[0:1]
	v_fma_f64 v[0:1], v[12:13], v[2:3], -v[0:1]
	v_mul_f64 v[6:7], v[0:1], s[2:3]
	ds_read_b128 v[0:3], v228 offset:44000
	v_accvgpr_read_b32 v12, a188
	v_mul_f64 v[4:5], v[4:5], s[2:3]
	v_add_u32_e32 v9, s4, v9
	v_accvgpr_read_b32 v14, a190
	v_accvgpr_read_b32 v15, a191
	global_store_dwordx4 v[8:9], v[4:7], off
	v_accvgpr_read_b32 v13, a189
	v_mad_u64_u32 v[8:9], s[6:7], s0, v142, v[8:9]
	s_waitcnt lgkmcnt(0)
	v_mul_f64 v[4:5], v[14:15], v[2:3]
	v_fmac_f64_e32 v[4:5], v[12:13], v[0:1]
	v_mul_f64 v[0:1], v[14:15], v[0:1]
	v_fma_f64 v[0:1], v[12:13], v[2:3], -v[0:1]
	v_mul_f64 v[6:7], v[0:1], s[2:3]
	ds_read_b128 v[0:3], v228 offset:6000
	v_accvgpr_read_b32 v12, a72
	v_mul_f64 v[4:5], v[4:5], s[2:3]
	v_add_u32_e32 v9, s4, v9
	;; [unrolled: 15-line block ×6, first 2 shown]
	v_accvgpr_read_b32 v14, a86
	v_accvgpr_read_b32 v15, a87
	global_store_dwordx4 v[8:9], v[4:7], off
	v_accvgpr_read_b32 v13, a85
	s_waitcnt lgkmcnt(0)
	v_mul_f64 v[4:5], v[14:15], v[2:3]
	v_fmac_f64_e32 v[4:5], v[12:13], v[0:1]
	v_mul_f64 v[0:1], v[14:15], v[0:1]
	v_fma_f64 v[0:1], v[12:13], v[2:3], -v[0:1]
	scratch_load_dwordx4 v[12:15], off, off offset:12 ; 16-byte Folded Reload
	v_mul_f64 v[6:7], v[0:1], s[2:3]
	v_mad_u64_u32 v[0:1], s[6:7], s0, v142, v[8:9]
	v_mul_f64 v[4:5], v[4:5], s[2:3]
	v_add_u32_e32 v1, s4, v1
	global_store_dwordx4 v[0:1], v[4:7], off
	ds_read_b128 v[2:5], v228 offset:8000
	v_mad_u64_u32 v[10:11], s[6:7], s0, v10, v[0:1]
	v_add_u32_e32 v11, s1, v11
	s_waitcnt vmcnt(1) lgkmcnt(0)
	v_mul_f64 v[6:7], v[14:15], v[4:5]
	v_fmac_f64_e32 v[6:7], v[12:13], v[2:3]
	v_mul_f64 v[2:3], v[14:15], v[2:3]
	v_fma_f64 v[2:3], v[12:13], v[4:5], -v[2:3]
	v_mul_f64 v[8:9], v[2:3], s[2:3]
	ds_read_b128 v[0:3], v228 offset:18000
	v_mul_f64 v[6:7], v[6:7], s[2:3]
	global_store_dwordx4 v[10:11], v[6:9], off
	s_nop 1
	v_accvgpr_read_b32 v6, a96
	v_accvgpr_read_b32 v8, a98
	;; [unrolled: 1-line block ×4, first 2 shown]
	s_waitcnt lgkmcnt(0)
	v_mul_f64 v[4:5], v[8:9], v[2:3]
	v_fmac_f64_e32 v[4:5], v[6:7], v[0:1]
	v_mul_f64 v[0:1], v[8:9], v[0:1]
	v_mad_u64_u32 v[8:9], s[6:7], s0, v142, v[10:11]
	scratch_load_dwordx4 v[10:13], off, off offset:108 ; 16-byte Folded Reload
	v_fma_f64 v[0:1], v[6:7], v[2:3], -v[0:1]
	v_mul_f64 v[6:7], v[0:1], s[2:3]
	ds_read_b128 v[0:3], v228 offset:28000
	v_mul_f64 v[4:5], v[4:5], s[2:3]
	v_add_u32_e32 v9, s4, v9
	global_store_dwordx4 v[8:9], v[4:7], off
	v_mad_u64_u32 v[8:9], s[6:7], s0, v142, v[8:9]
	v_add_u32_e32 v9, s4, v9
	s_waitcnt vmcnt(1) lgkmcnt(0)
	v_mul_f64 v[4:5], v[12:13], v[2:3]
	v_fmac_f64_e32 v[4:5], v[10:11], v[0:1]
	v_mul_f64 v[0:1], v[12:13], v[0:1]
	v_fma_f64 v[0:1], v[10:11], v[2:3], -v[0:1]
	scratch_load_dwordx4 v[10:13], off, off offset:248 ; 16-byte Folded Reload
	v_mul_f64 v[6:7], v[0:1], s[2:3]
	ds_read_b128 v[0:3], v228 offset:38000
	v_mul_f64 v[4:5], v[4:5], s[2:3]
	global_store_dwordx4 v[8:9], v[4:7], off
	s_waitcnt vmcnt(1) lgkmcnt(0)
	s_nop 0
	v_mul_f64 v[4:5], v[12:13], v[2:3]
	v_fmac_f64_e32 v[4:5], v[10:11], v[0:1]
	v_mul_f64 v[0:1], v[12:13], v[0:1]
	v_fma_f64 v[0:1], v[10:11], v[2:3], -v[0:1]
	v_mul_f64 v[6:7], v[0:1], s[2:3]
	v_mad_u64_u32 v[0:1], s[6:7], s0, v142, v[8:9]
	v_mul_f64 v[4:5], v[4:5], s[2:3]
	v_add_u32_e32 v1, s4, v1
	global_store_dwordx4 v[0:1], v[4:7], off
	ds_read_b128 v[2:5], v228 offset:48000
	v_accvgpr_read_b32 v8, a92
	v_accvgpr_read_b32 v10, a94
	;; [unrolled: 1-line block ×4, first 2 shown]
	s_waitcnt lgkmcnt(0)
	v_mul_f64 v[6:7], v[10:11], v[4:5]
	v_fmac_f64_e32 v[6:7], v[8:9], v[2:3]
	v_mul_f64 v[2:3], v[10:11], v[2:3]
	v_fma_f64 v[2:3], v[8:9], v[4:5], -v[2:3]
	v_mad_u64_u32 v[0:1], s[0:1], s0, v142, v[0:1]
	v_mul_f64 v[6:7], v[6:7], s[2:3]
	v_mul_f64 v[8:9], v[2:3], s[2:3]
	v_add_u32_e32 v1, s4, v1
	global_store_dwordx4 v[0:1], v[6:9], off
.LBB0_2:
	s_endpgm
	.section	.rodata,"a",@progbits
	.p2align	6, 0x0
	.amdhsa_kernel bluestein_single_fwd_len3125_dim1_dp_op_CI_CI
		.amdhsa_group_segment_fixed_size 50000
		.amdhsa_private_segment_fixed_size 272
		.amdhsa_kernarg_size 104
		.amdhsa_user_sgpr_count 2
		.amdhsa_user_sgpr_dispatch_ptr 0
		.amdhsa_user_sgpr_queue_ptr 0
		.amdhsa_user_sgpr_kernarg_segment_ptr 1
		.amdhsa_user_sgpr_dispatch_id 0
		.amdhsa_user_sgpr_kernarg_preload_length 0
		.amdhsa_user_sgpr_kernarg_preload_offset 0
		.amdhsa_user_sgpr_private_segment_size 0
		.amdhsa_uses_dynamic_stack 0
		.amdhsa_enable_private_segment 1
		.amdhsa_system_sgpr_workgroup_id_x 1
		.amdhsa_system_sgpr_workgroup_id_y 0
		.amdhsa_system_sgpr_workgroup_id_z 0
		.amdhsa_system_sgpr_workgroup_info 0
		.amdhsa_system_vgpr_workitem_id 0
		.amdhsa_next_free_vgpr 512
		.amdhsa_next_free_sgpr 17
		.amdhsa_accum_offset 256
		.amdhsa_reserve_vcc 1
		.amdhsa_float_round_mode_32 0
		.amdhsa_float_round_mode_16_64 0
		.amdhsa_float_denorm_mode_32 3
		.amdhsa_float_denorm_mode_16_64 3
		.amdhsa_dx10_clamp 1
		.amdhsa_ieee_mode 1
		.amdhsa_fp16_overflow 0
		.amdhsa_tg_split 0
		.amdhsa_exception_fp_ieee_invalid_op 0
		.amdhsa_exception_fp_denorm_src 0
		.amdhsa_exception_fp_ieee_div_zero 0
		.amdhsa_exception_fp_ieee_overflow 0
		.amdhsa_exception_fp_ieee_underflow 0
		.amdhsa_exception_fp_ieee_inexact 0
		.amdhsa_exception_int_div_zero 0
	.end_amdhsa_kernel
	.text
.Lfunc_end0:
	.size	bluestein_single_fwd_len3125_dim1_dp_op_CI_CI, .Lfunc_end0-bluestein_single_fwd_len3125_dim1_dp_op_CI_CI
                                        ; -- End function
	.section	.AMDGPU.csdata,"",@progbits
; Kernel info:
; codeLenInByte = 39252
; NumSgprs: 23
; NumVgprs: 256
; NumAgprs: 256
; TotalNumVgprs: 512
; ScratchSize: 272
; MemoryBound: 0
; FloatMode: 240
; IeeeMode: 1
; LDSByteSize: 50000 bytes/workgroup (compile time only)
; SGPRBlocks: 2
; VGPRBlocks: 63
; NumSGPRsForWavesPerEU: 23
; NumVGPRsForWavesPerEU: 512
; AccumOffset: 256
; Occupancy: 1
; WaveLimiterHint : 1
; COMPUTE_PGM_RSRC2:SCRATCH_EN: 1
; COMPUTE_PGM_RSRC2:USER_SGPR: 2
; COMPUTE_PGM_RSRC2:TRAP_HANDLER: 0
; COMPUTE_PGM_RSRC2:TGID_X_EN: 1
; COMPUTE_PGM_RSRC2:TGID_Y_EN: 0
; COMPUTE_PGM_RSRC2:TGID_Z_EN: 0
; COMPUTE_PGM_RSRC2:TIDIG_COMP_CNT: 0
; COMPUTE_PGM_RSRC3_GFX90A:ACCUM_OFFSET: 63
; COMPUTE_PGM_RSRC3_GFX90A:TG_SPLIT: 0
	.text
	.p2alignl 6, 3212836864
	.fill 256, 4, 3212836864
	.type	__hip_cuid_e3f2e6526b884944,@object ; @__hip_cuid_e3f2e6526b884944
	.section	.bss,"aw",@nobits
	.globl	__hip_cuid_e3f2e6526b884944
__hip_cuid_e3f2e6526b884944:
	.byte	0                               ; 0x0
	.size	__hip_cuid_e3f2e6526b884944, 1

	.ident	"AMD clang version 19.0.0git (https://github.com/RadeonOpenCompute/llvm-project roc-6.4.0 25133 c7fe45cf4b819c5991fe208aaa96edf142730f1d)"
	.section	".note.GNU-stack","",@progbits
	.addrsig
	.addrsig_sym __hip_cuid_e3f2e6526b884944
	.amdgpu_metadata
---
amdhsa.kernels:
  - .agpr_count:     256
    .args:
      - .actual_access:  read_only
        .address_space:  global
        .offset:         0
        .size:           8
        .value_kind:     global_buffer
      - .actual_access:  read_only
        .address_space:  global
        .offset:         8
        .size:           8
        .value_kind:     global_buffer
      - .actual_access:  read_only
        .address_space:  global
        .offset:         16
        .size:           8
        .value_kind:     global_buffer
      - .actual_access:  read_only
        .address_space:  global
        .offset:         24
        .size:           8
        .value_kind:     global_buffer
      - .actual_access:  read_only
        .address_space:  global
        .offset:         32
        .size:           8
        .value_kind:     global_buffer
      - .offset:         40
        .size:           8
        .value_kind:     by_value
      - .address_space:  global
        .offset:         48
        .size:           8
        .value_kind:     global_buffer
      - .address_space:  global
        .offset:         56
        .size:           8
        .value_kind:     global_buffer
      - .address_space:  global
        .offset:         64
        .size:           8
        .value_kind:     global_buffer
      - .address_space:  global
        .offset:         72
        .size:           8
        .value_kind:     global_buffer
      - .offset:         80
        .size:           4
        .value_kind:     by_value
      - .address_space:  global
        .offset:         88
        .size:           8
        .value_kind:     global_buffer
      - .address_space:  global
        .offset:         96
        .size:           8
        .value_kind:     global_buffer
    .group_segment_fixed_size: 50000
    .kernarg_segment_align: 8
    .kernarg_segment_size: 104
    .language:       OpenCL C
    .language_version:
      - 2
      - 0
    .max_flat_workgroup_size: 125
    .name:           bluestein_single_fwd_len3125_dim1_dp_op_CI_CI
    .private_segment_fixed_size: 272
    .sgpr_count:     23
    .sgpr_spill_count: 0
    .symbol:         bluestein_single_fwd_len3125_dim1_dp_op_CI_CI.kd
    .uniform_work_group_size: 1
    .uses_dynamic_stack: false
    .vgpr_count:     512
    .vgpr_spill_count: 67
    .wavefront_size: 64
amdhsa.target:   amdgcn-amd-amdhsa--gfx950
amdhsa.version:
  - 1
  - 2
...

	.end_amdgpu_metadata
